;; amdgpu-corpus repo=ROCm/rocSPARSE kind=compiled arch=gfx950 opt=O3
	.amdgcn_target "amdgcn-amd-amdhsa--gfx950"
	.amdhsa_code_object_version 6
	.section	.text._ZN9rocsparseL39bsrgeam_wf_per_row_multipass_2_3_kernelILj256ELj2ELj32EfEEv20rocsparse_direction_iiiNS_24const_host_device_scalarIT2_EEPKiS6_PKS3_S4_S6_S6_S8_S6_PiPS3_21rocsparse_index_base_SB_SB_b,"axG",@progbits,_ZN9rocsparseL39bsrgeam_wf_per_row_multipass_2_3_kernelILj256ELj2ELj32EfEEv20rocsparse_direction_iiiNS_24const_host_device_scalarIT2_EEPKiS6_PKS3_S4_S6_S6_S8_S6_PiPS3_21rocsparse_index_base_SB_SB_b,comdat
	.globl	_ZN9rocsparseL39bsrgeam_wf_per_row_multipass_2_3_kernelILj256ELj2ELj32EfEEv20rocsparse_direction_iiiNS_24const_host_device_scalarIT2_EEPKiS6_PKS3_S4_S6_S6_S8_S6_PiPS3_21rocsparse_index_base_SB_SB_b ; -- Begin function _ZN9rocsparseL39bsrgeam_wf_per_row_multipass_2_3_kernelILj256ELj2ELj32EfEEv20rocsparse_direction_iiiNS_24const_host_device_scalarIT2_EEPKiS6_PKS3_S4_S6_S6_S8_S6_PiPS3_21rocsparse_index_base_SB_SB_b
	.p2align	8
	.type	_ZN9rocsparseL39bsrgeam_wf_per_row_multipass_2_3_kernelILj256ELj2ELj32EfEEv20rocsparse_direction_iiiNS_24const_host_device_scalarIT2_EEPKiS6_PKS3_S4_S6_S6_S8_S6_PiPS3_21rocsparse_index_base_SB_SB_b,@function
_ZN9rocsparseL39bsrgeam_wf_per_row_multipass_2_3_kernelILj256ELj2ELj32EfEEv20rocsparse_direction_iiiNS_24const_host_device_scalarIT2_EEPKiS6_PKS3_S4_S6_S6_S8_S6_PiPS3_21rocsparse_index_base_SB_SB_b: ; @_ZN9rocsparseL39bsrgeam_wf_per_row_multipass_2_3_kernelILj256ELj2ELj32EfEEv20rocsparse_direction_iiiNS_24const_host_device_scalarIT2_EEPKiS6_PKS3_S4_S6_S6_S8_S6_PiPS3_21rocsparse_index_base_SB_SB_b
; %bb.0:
	s_load_dwordx4 s[4:7], s[0:1], 0x68
	s_load_dwordx2 s[24:25], s[0:1], 0x10
	s_load_dwordx2 s[26:27], s[0:1], 0x30
	s_waitcnt lgkmcnt(0)
	s_bitcmp1_b32 s7, 0
	s_cselect_b64 s[10:11], -1, 0
	s_xor_b64 s[8:9], s[10:11], -1
	s_and_b64 vcc, exec, s[10:11]
	s_cbranch_vccnz .LBB0_2
; %bb.1:
	s_load_dword s24, s[24:25], 0x0
.LBB0_2:
	s_andn2_b64 vcc, exec, s[8:9]
	s_cbranch_vccnz .LBB0_4
; %bb.3:
	s_load_dword s26, s[26:27], 0x0
.LBB0_4:
	s_nop 0
	s_load_dwordx4 s[8:11], s[0:1], 0x0
	s_lshl_b32 s2, s2, 3
	v_lshrrev_b32_e32 v1, 5, v0
	s_and_b32 s2, s2, 0x7fffff8
	v_or_b32_e32 v2, s2, v1
	s_waitcnt lgkmcnt(0)
	v_cmp_gt_i32_e32 vcc, s9, v2
	s_and_saveexec_b64 s[2:3], vcc
	s_cbranch_execz .LBB0_39
; %bb.5:
	s_load_dwordx4 s[12:15], s[0:1], 0x18
	s_load_dwordx4 s[16:19], s[0:1], 0x38
	s_load_dwordx2 s[2:3], s[0:1], 0x50
	v_lshlrev_b32_e32 v6, 2, v2
	s_waitcnt lgkmcnt(0)
	global_load_dwordx2 v[2:3], v6, s[12:13]
	global_load_dwordx2 v[4:5], v6, s[16:17]
	global_load_dword v14, v6, s[2:3]
	s_waitcnt vmcnt(2)
	v_subrev_u32_e32 v6, s4, v2
	v_cmp_lt_i32_e32 vcc, v2, v3
	v_mov_b32_e32 v2, s10
	s_and_saveexec_b64 s[2:3], vcc
	s_cbranch_execz .LBB0_7
; %bb.6:
	v_ashrrev_i32_e32 v7, 31, v6
	v_lshl_add_u64 v[8:9], v[6:7], 2, s[14:15]
	global_load_dword v2, v[8:9], off
	s_waitcnt vmcnt(0)
	v_subrev_u32_e32 v2, s4, v2
.LBB0_7:
	s_or_b64 exec, exec, s[2:3]
	s_load_dwordx4 s[20:23], s[0:1], 0x58
	s_load_dwordx2 s[12:13], s[0:1], 0x28
	s_load_dwordx2 s[16:17], s[0:1], 0x48
	s_waitcnt vmcnt(1)
	v_subrev_u32_e32 v8, s5, v4
	v_cmp_lt_i32_e32 vcc, v4, v5
	v_mov_b32_e32 v4, s10
	s_and_saveexec_b64 s[0:1], vcc
	s_cbranch_execz .LBB0_9
; %bb.8:
	v_ashrrev_i32_e32 v9, 31, v8
	v_lshl_add_u64 v[10:11], v[8:9], 2, s[18:19]
	global_load_dword v4, v[10:11], off
	s_waitcnt vmcnt(0)
	v_subrev_u32_e32 v4, s5, v4
.LBB0_9:
	s_or_b64 exec, exec, s[0:1]
	v_subrev_u32_e32 v13, s5, v5
	v_mbcnt_lo_u32_b32 v5, -1, 0
	v_subrev_u32_e32 v12, s4, v3
	v_and_b32_e32 v3, 31, v0
	v_mbcnt_hi_u32_b32 v5, -1, v5
	v_and_b32_e32 v7, 0xe0, v0
	v_min_i32_e32 v23, v4, v2
	v_add_u32_e32 v2, v6, v3
	v_and_b32_e32 v6, 64, v5
	v_bitop3_b32 v0, v0, 31, v0 bitop3:0xc
	v_add_u32_e32 v6, 64, v6
	v_lshrrev_b32_e64 v16, v0, -1
	v_xor_b32_e32 v0, 16, v5
	v_cmp_lt_i32_e32 vcc, v0, v6
	s_cmp_lg_u32 s8, 0
	s_cselect_b64 s[0:1], -1, 0
	v_cndmask_b32_e32 v0, v5, v0, vcc
	v_lshlrev_b32_e32 v18, 2, v0
	v_xor_b32_e32 v0, 8, v5
	v_cmp_lt_i32_e32 vcc, v0, v6
	v_or_b32_e32 v10, 0x1000, v7
	v_lshlrev_b32_e32 v11, 9, v1
	v_cndmask_b32_e32 v0, v5, v0, vcc
	v_lshlrev_b32_e32 v19, 2, v0
	v_xor_b32_e32 v0, 4, v5
	v_cmp_lt_i32_e32 vcc, v0, v6
	v_mov_b32_e32 v1, 0
	s_cmp_eq_u32 s8, 0
	v_cndmask_b32_e32 v0, v5, v0, vcc
	v_lshlrev_b32_e32 v20, 2, v0
	v_xor_b32_e32 v0, 2, v5
	v_cmp_lt_i32_e32 vcc, v0, v6
	s_waitcnt vmcnt(0)
	v_subrev_u32_e32 v14, s6, v14
	v_add_u32_e32 v4, v8, v3
	v_cndmask_b32_e32 v0, v5, v0, vcc
	v_lshlrev_b32_e32 v21, 2, v0
	v_xor_b32_e32 v0, 1, v5
	v_cmp_lt_i32_e32 vcc, v0, v6
	v_lshl_or_b32 v15, v3, 4, v11
	v_add_u32_e32 v17, s6, v3
	v_cndmask_b32_e32 v0, v5, v0, vcc
	v_lshlrev_b32_e32 v22, 2, v0
	v_cndmask_b32_e64 v0, 0, 1, s[0:1]
	s_cselect_b32 s11, 4, 8
	s_cselect_b32 s33, 8, 4
	s_mov_b32 s25, s24
	s_mov_b32 s27, s26
	s_mov_b64 s[6:7], 0
	v_add_u32_e32 v24, v10, v3
	v_mov_b32_e32 v28, v1
	v_mov_b32_e32 v29, v1
	;; [unrolled: 1-line block ×5, first 2 shown]
	v_cmp_ne_u32_e64 s[0:1], 1, v0
	s_branch .LBB0_11
.LBB0_10:                               ;   in Loop: Header=BB0_11 Depth=1
	s_or_b64 exec, exec, s[8:9]
	ds_bpermute_b32 v0, v18, v26
	s_bcnt1_i32_b64 s2, vcc
	v_add_u32_e32 v14, s2, v14
	s_waitcnt lgkmcnt(0)
	v_min_i32_e32 v0, v0, v26
	ds_bpermute_b32 v3, v19, v0
	s_waitcnt lgkmcnt(0)
	v_min_i32_e32 v0, v3, v0
	ds_bpermute_b32 v3, v20, v0
	s_waitcnt lgkmcnt(0)
	v_min_i32_e32 v0, v3, v0
	ds_bpermute_b32 v3, v21, v0
	s_waitcnt lgkmcnt(0)
	v_min_i32_e32 v0, v3, v0
	ds_bpermute_b32 v3, v22, v0
	s_waitcnt lgkmcnt(0)
	v_min_i32_e32 v23, v3, v0
	v_cmp_le_i32_e32 vcc, s10, v23
	s_or_b64 s[6:7], vcc, s[6:7]
	s_andn2_b64 exec, exec, s[6:7]
	s_cbranch_execz .LBB0_39
.LBB0_11:                               ; =>This Loop Header: Depth=1
                                        ;     Child Loop BB0_14 Depth 2
                                        ;     Child Loop BB0_27 Depth 2
	v_cmp_lt_i32_e32 vcc, v2, v12
	v_mov_b32_e32 v26, s10
	ds_write_b8 v24, v1
	ds_write_b128 v15, v[28:31]
	s_waitcnt lgkmcnt(0)
	s_and_saveexec_b64 s[8:9], vcc
	s_cbranch_execz .LBB0_24
; %bb.12:                               ;   in Loop: Header=BB0_11 Depth=1
	v_lshlrev_b32_e32 v0, 2, v2
	s_mov_b64 s[28:29], 0
	v_mov_b32_e32 v26, s10
	s_branch .LBB0_14
.LBB0_13:                               ;   in Loop: Header=BB0_14 Depth=2
	s_or_b64 exec, exec, s[34:35]
	s_and_b64 s[2:3], exec, s[30:31]
	s_or_b64 s[28:29], s[2:3], s[28:29]
	s_andn2_b64 exec, exec, s[28:29]
	s_cbranch_execz .LBB0_23
.LBB0_14:                               ;   Parent Loop BB0_11 Depth=1
                                        ; =>  This Inner Loop Header: Depth=2
	v_ashrrev_i32_e32 v3, 31, v2
	v_lshl_add_u64 v[6:7], v[2:3], 2, s[14:15]
	global_load_dword v3, v[6:7], off
	s_waitcnt vmcnt(0)
	v_subrev_u32_e32 v5, s4, v3
	v_sub_u32_e32 v3, v5, v23
	v_cmp_gt_u32_e64 s[2:3], 32, v3
	v_cmp_lt_u32_e32 vcc, 31, v3
	s_and_saveexec_b64 s[30:31], vcc
	s_xor_b64 s[30:31], exec, s[30:31]
; %bb.15:                               ;   in Loop: Header=BB0_14 Depth=2
	v_min_i32_e32 v26, v5, v26
                                        ; implicit-def: $vgpr3
; %bb.16:                               ;   in Loop: Header=BB0_14 Depth=2
	s_andn2_saveexec_b64 s[30:31], s[30:31]
	s_cbranch_execz .LBB0_21
; %bb.17:                               ;   in Loop: Header=BB0_14 Depth=2
	v_lshl_add_u64 v[6:7], v[0:1], 2, s[12:13]
	global_load_dword v5, v[6:7], off
	v_add_u32_e32 v8, v10, v3
	v_lshlrev_b32_e32 v3, 4, v3
	s_and_b64 vcc, exec, s[0:1]
	v_add_u32_e32 v3, v11, v3
	s_mov_b64 s[34:35], -1
	ds_write_b8 v8, v25
	s_waitcnt vmcnt(0)
	v_mul_f32_e32 v5, s24, v5
	ds_write_b32 v3, v5
	s_cbranch_vccnz .LBB0_19
; %bb.18:                               ;   in Loop: Header=BB0_14 Depth=2
	global_load_dwordx3 v[32:34], v[6:7], off offset:4
	s_mov_b64 s[34:35], 0
	s_waitcnt vmcnt(0)
	v_pk_mul_f32 v[8:9], s[24:25], v[32:33] op_sel:[0,1] op_sel_hi:[1,0]
	v_mul_f32_e32 v5, s24, v34
	ds_write2_b32 v3, v8, v9 offset0:1 offset1:2
	ds_write_b32 v3, v5 offset:12
.LBB0_19:                               ;   in Loop: Header=BB0_14 Depth=2
	s_andn2_b64 vcc, exec, s[34:35]
	s_cbranch_vccnz .LBB0_21
; %bb.20:                               ;   in Loop: Header=BB0_14 Depth=2
	global_load_dwordx3 v[6:8], v[6:7], off offset:4
	s_waitcnt vmcnt(0)
	v_pk_mul_f32 v[6:7], s[24:25], v[6:7]
	v_mul_f32_e32 v5, s24, v8
	ds_write2_b32 v3, v6, v7 offset0:1 offset1:2
	ds_write_b32 v3, v5 offset:12
.LBB0_21:                               ;   in Loop: Header=BB0_14 Depth=2
	s_or_b64 exec, exec, s[30:31]
	s_mov_b64 s[30:31], -1
	s_and_saveexec_b64 s[34:35], s[2:3]
	s_cbranch_execz .LBB0_13
; %bb.22:                               ;   in Loop: Header=BB0_14 Depth=2
	v_add_u32_e32 v2, 32, v2
	v_cmp_ge_i32_e32 vcc, v2, v12
	v_add_u32_e32 v0, 0x80, v0
	s_orn2_b64 s[30:31], vcc, exec
	s_branch .LBB0_13
.LBB0_23:                               ;   in Loop: Header=BB0_11 Depth=1
	s_or_b64 exec, exec, s[28:29]
.LBB0_24:                               ;   in Loop: Header=BB0_11 Depth=1
	s_or_b64 exec, exec, s[8:9]
	v_cmp_lt_i32_e32 vcc, v4, v13
	s_waitcnt lgkmcnt(0)
	s_and_saveexec_b64 s[8:9], vcc
	s_cbranch_execz .LBB0_37
; %bb.25:                               ;   in Loop: Header=BB0_11 Depth=1
	v_lshlrev_b32_e32 v0, 2, v4
	s_mov_b64 s[28:29], 0
	s_branch .LBB0_27
.LBB0_26:                               ;   in Loop: Header=BB0_27 Depth=2
	s_or_b64 exec, exec, s[34:35]
	s_and_b64 s[2:3], exec, s[30:31]
	s_or_b64 s[28:29], s[2:3], s[28:29]
	s_andn2_b64 exec, exec, s[28:29]
	s_cbranch_execz .LBB0_36
.LBB0_27:                               ;   Parent Loop BB0_11 Depth=1
                                        ; =>  This Inner Loop Header: Depth=2
	v_ashrrev_i32_e32 v5, 31, v4
	v_lshl_add_u64 v[6:7], v[4:5], 2, s[18:19]
	global_load_dword v3, v[6:7], off
	s_waitcnt vmcnt(0)
	v_subrev_u32_e32 v3, s5, v3
	v_sub_u32_e32 v5, v3, v23
	v_cmp_gt_u32_e64 s[2:3], 32, v5
	v_cmp_lt_u32_e32 vcc, 31, v5
	s_and_saveexec_b64 s[30:31], vcc
	s_xor_b64 s[30:31], exec, s[30:31]
; %bb.28:                               ;   in Loop: Header=BB0_27 Depth=2
	v_min_i32_e32 v26, v3, v26
                                        ; implicit-def: $vgpr5
; %bb.29:                               ;   in Loop: Header=BB0_27 Depth=2
	s_andn2_saveexec_b64 s[30:31], s[30:31]
	s_cbranch_execz .LBB0_34
; %bb.30:                               ;   in Loop: Header=BB0_27 Depth=2
	v_lshl_add_u64 v[6:7], v[0:1], 2, s[16:17]
	global_load_dword v27, v[6:7], off
	v_lshlrev_b32_e32 v3, 4, v5
	v_add_u32_e32 v3, v11, v3
	ds_read_b64 v[8:9], v3
	v_add_u32_e32 v5, v10, v5
	s_and_b64 vcc, exec, s[0:1]
	s_mov_b64 s[34:35], -1
	ds_write_b8 v5, v25
	s_waitcnt vmcnt(0) lgkmcnt(1)
	v_fmac_f32_e32 v8, s26, v27
	ds_write_b32 v3, v8
	s_cbranch_vccnz .LBB0_32
; %bb.31:                               ;   in Loop: Header=BB0_27 Depth=2
	global_load_dwordx3 v[32:34], v[6:7], off offset:4
	ds_read_b64 v[36:37], v3 offset:8
	v_mov_b32_e32 v38, v9
	s_mov_b64 s[34:35], 0
	s_waitcnt lgkmcnt(0)
	v_mov_b32_e32 v39, v36
	s_waitcnt vmcnt(0)
	v_pk_fma_f32 v[32:33], s[26:27], v[32:33], v[38:39] op_sel:[0,1,0] op_sel_hi:[1,0,1]
	v_fmac_f32_e32 v37, s26, v34
	ds_write2_b32 v3, v32, v33 offset0:1 offset1:2
	ds_write_b32 v3, v37 offset:12
.LBB0_32:                               ;   in Loop: Header=BB0_27 Depth=2
	s_andn2_b64 vcc, exec, s[34:35]
	s_cbranch_vccnz .LBB0_34
; %bb.33:                               ;   in Loop: Header=BB0_27 Depth=2
	global_load_dwordx3 v[6:8], v[6:7], off offset:4
	ds_read_b64 v[32:33], v3 offset:8
	v_mov_b32_e32 v34, v9
	s_waitcnt lgkmcnt(0)
	v_mov_b32_e32 v35, v32
	s_waitcnt vmcnt(0)
	v_pk_fma_f32 v[6:7], s[26:27], v[6:7], v[34:35]
	v_fmac_f32_e32 v33, s26, v8
	ds_write2_b32 v3, v6, v7 offset0:1 offset1:2
	ds_write_b32 v3, v33 offset:12
.LBB0_34:                               ;   in Loop: Header=BB0_27 Depth=2
	s_or_b64 exec, exec, s[30:31]
	s_mov_b64 s[30:31], -1
	s_and_saveexec_b64 s[34:35], s[2:3]
	s_cbranch_execz .LBB0_26
; %bb.35:                               ;   in Loop: Header=BB0_27 Depth=2
	v_add_u32_e32 v4, 32, v4
	v_cmp_ge_i32_e32 vcc, v4, v13
	v_add_u32_e32 v0, 0x80, v0
	s_orn2_b64 s[30:31], vcc, exec
	s_branch .LBB0_26
.LBB0_36:                               ;   in Loop: Header=BB0_11 Depth=1
	s_or_b64 exec, exec, s[28:29]
.LBB0_37:                               ;   in Loop: Header=BB0_11 Depth=1
	s_or_b64 exec, exec, s[8:9]
	s_waitcnt lgkmcnt(0)
	ds_read_u8 v0, v24
	s_waitcnt lgkmcnt(0)
	v_and_b32_e32 v3, 1, v0
	v_cmp_eq_u32_e64 s[2:3], 1, v3
	v_cmp_ne_u16_e32 vcc, 0, v0
	s_and_saveexec_b64 s[8:9], s[2:3]
	s_cbranch_execz .LBB0_10
; %bb.38:                               ;   in Loop: Header=BB0_11 Depth=1
	v_and_b32_e32 v0, vcc_lo, v16
	v_bcnt_u32_b32 v0, v0, 0
	v_add3_u32 v6, v14, v0, -1
	v_ashrrev_i32_e32 v7, 31, v6
	v_add_u32_e32 v3, v17, v23
	v_lshl_add_u64 v[8:9], v[6:7], 2, s[20:21]
	global_store_dword v[8:9], v3, off
	v_add_u32_e32 v0, s11, v15
	v_add_u32_e32 v3, s33, v15
	ds_read2_b32 v[8:9], v15 offset1:3
	ds_read_b32 v33, v0
	ds_read_b32 v34, v3
	v_lshlrev_b32_e32 v0, 2, v6
	v_lshl_add_u64 v[6:7], v[0:1], 2, s[22:23]
	s_waitcnt lgkmcnt(2)
	v_mov_b32_e32 v32, v8
	v_mov_b32_e32 v35, v9
	s_waitcnt lgkmcnt(0)
	global_store_dwordx4 v[6:7], v[32:35], off
	s_branch .LBB0_10
.LBB0_39:
	s_endpgm
	.section	.rodata,"a",@progbits
	.p2align	6, 0x0
	.amdhsa_kernel _ZN9rocsparseL39bsrgeam_wf_per_row_multipass_2_3_kernelILj256ELj2ELj32EfEEv20rocsparse_direction_iiiNS_24const_host_device_scalarIT2_EEPKiS6_PKS3_S4_S6_S6_S8_S6_PiPS3_21rocsparse_index_base_SB_SB_b
		.amdhsa_group_segment_fixed_size 4352
		.amdhsa_private_segment_fixed_size 0
		.amdhsa_kernarg_size 120
		.amdhsa_user_sgpr_count 2
		.amdhsa_user_sgpr_dispatch_ptr 0
		.amdhsa_user_sgpr_queue_ptr 0
		.amdhsa_user_sgpr_kernarg_segment_ptr 1
		.amdhsa_user_sgpr_dispatch_id 0
		.amdhsa_user_sgpr_kernarg_preload_length 0
		.amdhsa_user_sgpr_kernarg_preload_offset 0
		.amdhsa_user_sgpr_private_segment_size 0
		.amdhsa_uses_dynamic_stack 0
		.amdhsa_enable_private_segment 0
		.amdhsa_system_sgpr_workgroup_id_x 1
		.amdhsa_system_sgpr_workgroup_id_y 0
		.amdhsa_system_sgpr_workgroup_id_z 0
		.amdhsa_system_sgpr_workgroup_info 0
		.amdhsa_system_vgpr_workitem_id 0
		.amdhsa_next_free_vgpr 40
		.amdhsa_next_free_sgpr 36
		.amdhsa_accum_offset 40
		.amdhsa_reserve_vcc 1
		.amdhsa_float_round_mode_32 0
		.amdhsa_float_round_mode_16_64 0
		.amdhsa_float_denorm_mode_32 3
		.amdhsa_float_denorm_mode_16_64 3
		.amdhsa_dx10_clamp 1
		.amdhsa_ieee_mode 1
		.amdhsa_fp16_overflow 0
		.amdhsa_tg_split 0
		.amdhsa_exception_fp_ieee_invalid_op 0
		.amdhsa_exception_fp_denorm_src 0
		.amdhsa_exception_fp_ieee_div_zero 0
		.amdhsa_exception_fp_ieee_overflow 0
		.amdhsa_exception_fp_ieee_underflow 0
		.amdhsa_exception_fp_ieee_inexact 0
		.amdhsa_exception_int_div_zero 0
	.end_amdhsa_kernel
	.section	.text._ZN9rocsparseL39bsrgeam_wf_per_row_multipass_2_3_kernelILj256ELj2ELj32EfEEv20rocsparse_direction_iiiNS_24const_host_device_scalarIT2_EEPKiS6_PKS3_S4_S6_S6_S8_S6_PiPS3_21rocsparse_index_base_SB_SB_b,"axG",@progbits,_ZN9rocsparseL39bsrgeam_wf_per_row_multipass_2_3_kernelILj256ELj2ELj32EfEEv20rocsparse_direction_iiiNS_24const_host_device_scalarIT2_EEPKiS6_PKS3_S4_S6_S6_S8_S6_PiPS3_21rocsparse_index_base_SB_SB_b,comdat
.Lfunc_end0:
	.size	_ZN9rocsparseL39bsrgeam_wf_per_row_multipass_2_3_kernelILj256ELj2ELj32EfEEv20rocsparse_direction_iiiNS_24const_host_device_scalarIT2_EEPKiS6_PKS3_S4_S6_S6_S8_S6_PiPS3_21rocsparse_index_base_SB_SB_b, .Lfunc_end0-_ZN9rocsparseL39bsrgeam_wf_per_row_multipass_2_3_kernelILj256ELj2ELj32EfEEv20rocsparse_direction_iiiNS_24const_host_device_scalarIT2_EEPKiS6_PKS3_S4_S6_S6_S8_S6_PiPS3_21rocsparse_index_base_SB_SB_b
                                        ; -- End function
	.set _ZN9rocsparseL39bsrgeam_wf_per_row_multipass_2_3_kernelILj256ELj2ELj32EfEEv20rocsparse_direction_iiiNS_24const_host_device_scalarIT2_EEPKiS6_PKS3_S4_S6_S6_S8_S6_PiPS3_21rocsparse_index_base_SB_SB_b.num_vgpr, 40
	.set _ZN9rocsparseL39bsrgeam_wf_per_row_multipass_2_3_kernelILj256ELj2ELj32EfEEv20rocsparse_direction_iiiNS_24const_host_device_scalarIT2_EEPKiS6_PKS3_S4_S6_S6_S8_S6_PiPS3_21rocsparse_index_base_SB_SB_b.num_agpr, 0
	.set _ZN9rocsparseL39bsrgeam_wf_per_row_multipass_2_3_kernelILj256ELj2ELj32EfEEv20rocsparse_direction_iiiNS_24const_host_device_scalarIT2_EEPKiS6_PKS3_S4_S6_S6_S8_S6_PiPS3_21rocsparse_index_base_SB_SB_b.numbered_sgpr, 36
	.set _ZN9rocsparseL39bsrgeam_wf_per_row_multipass_2_3_kernelILj256ELj2ELj32EfEEv20rocsparse_direction_iiiNS_24const_host_device_scalarIT2_EEPKiS6_PKS3_S4_S6_S6_S8_S6_PiPS3_21rocsparse_index_base_SB_SB_b.num_named_barrier, 0
	.set _ZN9rocsparseL39bsrgeam_wf_per_row_multipass_2_3_kernelILj256ELj2ELj32EfEEv20rocsparse_direction_iiiNS_24const_host_device_scalarIT2_EEPKiS6_PKS3_S4_S6_S6_S8_S6_PiPS3_21rocsparse_index_base_SB_SB_b.private_seg_size, 0
	.set _ZN9rocsparseL39bsrgeam_wf_per_row_multipass_2_3_kernelILj256ELj2ELj32EfEEv20rocsparse_direction_iiiNS_24const_host_device_scalarIT2_EEPKiS6_PKS3_S4_S6_S6_S8_S6_PiPS3_21rocsparse_index_base_SB_SB_b.uses_vcc, 1
	.set _ZN9rocsparseL39bsrgeam_wf_per_row_multipass_2_3_kernelILj256ELj2ELj32EfEEv20rocsparse_direction_iiiNS_24const_host_device_scalarIT2_EEPKiS6_PKS3_S4_S6_S6_S8_S6_PiPS3_21rocsparse_index_base_SB_SB_b.uses_flat_scratch, 0
	.set _ZN9rocsparseL39bsrgeam_wf_per_row_multipass_2_3_kernelILj256ELj2ELj32EfEEv20rocsparse_direction_iiiNS_24const_host_device_scalarIT2_EEPKiS6_PKS3_S4_S6_S6_S8_S6_PiPS3_21rocsparse_index_base_SB_SB_b.has_dyn_sized_stack, 0
	.set _ZN9rocsparseL39bsrgeam_wf_per_row_multipass_2_3_kernelILj256ELj2ELj32EfEEv20rocsparse_direction_iiiNS_24const_host_device_scalarIT2_EEPKiS6_PKS3_S4_S6_S6_S8_S6_PiPS3_21rocsparse_index_base_SB_SB_b.has_recursion, 0
	.set _ZN9rocsparseL39bsrgeam_wf_per_row_multipass_2_3_kernelILj256ELj2ELj32EfEEv20rocsparse_direction_iiiNS_24const_host_device_scalarIT2_EEPKiS6_PKS3_S4_S6_S6_S8_S6_PiPS3_21rocsparse_index_base_SB_SB_b.has_indirect_call, 0
	.section	.AMDGPU.csdata,"",@progbits
; Kernel info:
; codeLenInByte = 1548
; TotalNumSgprs: 42
; NumVgprs: 40
; NumAgprs: 0
; TotalNumVgprs: 40
; ScratchSize: 0
; MemoryBound: 0
; FloatMode: 240
; IeeeMode: 1
; LDSByteSize: 4352 bytes/workgroup (compile time only)
; SGPRBlocks: 5
; VGPRBlocks: 4
; NumSGPRsForWavesPerEU: 42
; NumVGPRsForWavesPerEU: 40
; AccumOffset: 40
; Occupancy: 8
; WaveLimiterHint : 1
; COMPUTE_PGM_RSRC2:SCRATCH_EN: 0
; COMPUTE_PGM_RSRC2:USER_SGPR: 2
; COMPUTE_PGM_RSRC2:TRAP_HANDLER: 0
; COMPUTE_PGM_RSRC2:TGID_X_EN: 1
; COMPUTE_PGM_RSRC2:TGID_Y_EN: 0
; COMPUTE_PGM_RSRC2:TGID_Z_EN: 0
; COMPUTE_PGM_RSRC2:TIDIG_COMP_CNT: 0
; COMPUTE_PGM_RSRC3_GFX90A:ACCUM_OFFSET: 9
; COMPUTE_PGM_RSRC3_GFX90A:TG_SPLIT: 0
	.section	.text._ZN9rocsparseL39bsrgeam_wf_per_row_multipass_2_3_kernelILj256ELj2ELj64EfEEv20rocsparse_direction_iiiNS_24const_host_device_scalarIT2_EEPKiS6_PKS3_S4_S6_S6_S8_S6_PiPS3_21rocsparse_index_base_SB_SB_b,"axG",@progbits,_ZN9rocsparseL39bsrgeam_wf_per_row_multipass_2_3_kernelILj256ELj2ELj64EfEEv20rocsparse_direction_iiiNS_24const_host_device_scalarIT2_EEPKiS6_PKS3_S4_S6_S6_S8_S6_PiPS3_21rocsparse_index_base_SB_SB_b,comdat
	.globl	_ZN9rocsparseL39bsrgeam_wf_per_row_multipass_2_3_kernelILj256ELj2ELj64EfEEv20rocsparse_direction_iiiNS_24const_host_device_scalarIT2_EEPKiS6_PKS3_S4_S6_S6_S8_S6_PiPS3_21rocsparse_index_base_SB_SB_b ; -- Begin function _ZN9rocsparseL39bsrgeam_wf_per_row_multipass_2_3_kernelILj256ELj2ELj64EfEEv20rocsparse_direction_iiiNS_24const_host_device_scalarIT2_EEPKiS6_PKS3_S4_S6_S6_S8_S6_PiPS3_21rocsparse_index_base_SB_SB_b
	.p2align	8
	.type	_ZN9rocsparseL39bsrgeam_wf_per_row_multipass_2_3_kernelILj256ELj2ELj64EfEEv20rocsparse_direction_iiiNS_24const_host_device_scalarIT2_EEPKiS6_PKS3_S4_S6_S6_S8_S6_PiPS3_21rocsparse_index_base_SB_SB_b,@function
_ZN9rocsparseL39bsrgeam_wf_per_row_multipass_2_3_kernelILj256ELj2ELj64EfEEv20rocsparse_direction_iiiNS_24const_host_device_scalarIT2_EEPKiS6_PKS3_S4_S6_S6_S8_S6_PiPS3_21rocsparse_index_base_SB_SB_b: ; @_ZN9rocsparseL39bsrgeam_wf_per_row_multipass_2_3_kernelILj256ELj2ELj64EfEEv20rocsparse_direction_iiiNS_24const_host_device_scalarIT2_EEPKiS6_PKS3_S4_S6_S6_S8_S6_PiPS3_21rocsparse_index_base_SB_SB_b
; %bb.0:
	s_load_dwordx4 s[4:7], s[0:1], 0x68
	s_load_dwordx2 s[24:25], s[0:1], 0x10
	s_load_dwordx2 s[26:27], s[0:1], 0x30
	s_waitcnt lgkmcnt(0)
	s_bitcmp1_b32 s7, 0
	s_cselect_b64 s[10:11], -1, 0
	s_xor_b64 s[8:9], s[10:11], -1
	s_and_b64 vcc, exec, s[10:11]
	s_cbranch_vccnz .LBB1_2
; %bb.1:
	s_load_dword s24, s[24:25], 0x0
.LBB1_2:
	s_andn2_b64 vcc, exec, s[8:9]
	s_cbranch_vccnz .LBB1_4
; %bb.3:
	s_load_dword s26, s[26:27], 0x0
.LBB1_4:
	s_nop 0
	s_load_dwordx4 s[8:11], s[0:1], 0x0
	s_lshl_b32 s2, s2, 2
	v_lshrrev_b32_e32 v1, 6, v0
	s_and_b32 s2, s2, 0x3fffffc
	v_or_b32_e32 v2, s2, v1
	s_waitcnt lgkmcnt(0)
	v_cmp_gt_i32_e32 vcc, s9, v2
	s_and_saveexec_b64 s[2:3], vcc
	s_cbranch_execz .LBB1_39
; %bb.5:
	s_load_dwordx4 s[12:15], s[0:1], 0x18
	s_load_dwordx4 s[16:19], s[0:1], 0x38
	s_load_dwordx2 s[2:3], s[0:1], 0x50
	v_lshlrev_b32_e32 v6, 2, v2
	s_waitcnt lgkmcnt(0)
	global_load_dwordx2 v[2:3], v6, s[12:13]
	global_load_dwordx2 v[4:5], v6, s[16:17]
	global_load_dword v10, v6, s[2:3]
	s_waitcnt vmcnt(2)
	v_subrev_u32_e32 v6, s4, v2
	v_cmp_lt_i32_e32 vcc, v2, v3
	v_mov_b32_e32 v2, s10
	s_and_saveexec_b64 s[2:3], vcc
	s_cbranch_execz .LBB1_7
; %bb.6:
	v_ashrrev_i32_e32 v7, 31, v6
	v_lshl_add_u64 v[8:9], v[6:7], 2, s[14:15]
	global_load_dword v2, v[8:9], off
	s_waitcnt vmcnt(0)
	v_subrev_u32_e32 v2, s4, v2
.LBB1_7:
	s_or_b64 exec, exec, s[2:3]
	s_load_dwordx4 s[20:23], s[0:1], 0x58
	s_load_dwordx2 s[12:13], s[0:1], 0x28
	s_load_dwordx2 s[16:17], s[0:1], 0x48
	s_waitcnt vmcnt(1)
	v_subrev_u32_e32 v8, s5, v4
	v_cmp_lt_i32_e32 vcc, v4, v5
	v_mov_b32_e32 v4, s10
	s_and_saveexec_b64 s[0:1], vcc
	s_cbranch_execz .LBB1_9
; %bb.8:
	v_ashrrev_i32_e32 v9, 31, v8
	v_lshl_add_u64 v[12:13], v[8:9], 2, s[18:19]
	global_load_dword v4, v[12:13], off
	s_waitcnt vmcnt(0)
	v_subrev_u32_e32 v4, s5, v4
.LBB1_9:
	s_or_b64 exec, exec, s[0:1]
	v_subrev_u32_e32 v15, s5, v5
	v_mbcnt_lo_u32_b32 v5, -1, 0
	v_subrev_u32_e32 v14, s4, v3
	v_and_b32_e32 v3, 63, v0
	v_mbcnt_hi_u32_b32 v5, -1, v5
	v_and_b32_e32 v7, 0xc0, v0
	v_min_i32_e32 v25, v4, v2
	v_add_u32_e32 v2, v6, v3
	v_and_b32_e32 v6, 64, v5
	v_bitop3_b32 v0, v0, 63, v0 bitop3:0xc
	v_or_b32_e32 v12, 0x1000, v7
	v_add_u32_e32 v4, v8, v3
	v_add_u32_e32 v8, 64, v6
	v_lshrrev_b64 v[6:7], v0, -1
	v_xor_b32_e32 v0, 32, v5
	v_cmp_lt_i32_e32 vcc, v0, v8
	s_cmp_lg_u32 s8, 0
	s_cselect_b64 s[0:1], -1, 0
	v_cndmask_b32_e32 v0, v5, v0, vcc
	v_lshlrev_b32_e32 v19, 2, v0
	v_xor_b32_e32 v0, 16, v5
	v_cmp_lt_i32_e32 vcc, v0, v8
	v_lshlrev_b32_e32 v13, 10, v1
	v_mov_b32_e32 v1, 0
	v_cndmask_b32_e32 v0, v5, v0, vcc
	v_lshlrev_b32_e32 v20, 2, v0
	v_xor_b32_e32 v0, 8, v5
	v_cmp_lt_i32_e32 vcc, v0, v8
	s_cmp_eq_u32 s8, 0
	s_waitcnt vmcnt(0)
	v_subrev_u32_e32 v16, s6, v10
	v_cndmask_b32_e32 v0, v5, v0, vcc
	v_lshlrev_b32_e32 v21, 2, v0
	v_xor_b32_e32 v0, 4, v5
	v_cmp_lt_i32_e32 vcc, v0, v8
	v_lshl_or_b32 v17, v3, 4, v13
	v_add_u32_e32 v18, s6, v3
	v_cndmask_b32_e32 v0, v5, v0, vcc
	v_lshlrev_b32_e32 v22, 2, v0
	v_xor_b32_e32 v0, 2, v5
	v_cmp_lt_i32_e32 vcc, v0, v8
	s_cselect_b32 s11, 4, 8
	s_cselect_b32 s33, 8, 4
	v_cndmask_b32_e32 v0, v5, v0, vcc
	v_lshlrev_b32_e32 v23, 2, v0
	v_xor_b32_e32 v0, 1, v5
	v_cmp_lt_i32_e32 vcc, v0, v8
	s_mov_b32 s25, s24
	s_mov_b32 s27, s26
	v_cndmask_b32_e32 v0, v5, v0, vcc
	v_lshlrev_b32_e32 v24, 2, v0
	v_cndmask_b32_e64 v0, 0, 1, s[0:1]
	s_mov_b64 s[6:7], 0
	v_add_u32_e32 v26, v12, v3
	v_mov_b32_e32 v30, v1
	v_mov_b32_e32 v31, v1
	;; [unrolled: 1-line block ×5, first 2 shown]
	v_cmp_ne_u32_e64 s[0:1], 1, v0
	s_branch .LBB1_11
.LBB1_10:                               ;   in Loop: Header=BB1_11 Depth=1
	s_or_b64 exec, exec, s[8:9]
	ds_bpermute_b32 v0, v19, v28
	s_bcnt1_i32_b64 s2, vcc
	v_add_u32_e32 v16, s2, v16
	s_waitcnt lgkmcnt(0)
	v_min_i32_e32 v0, v0, v28
	ds_bpermute_b32 v3, v20, v0
	s_waitcnt lgkmcnt(0)
	v_min_i32_e32 v0, v3, v0
	ds_bpermute_b32 v3, v21, v0
	;; [unrolled: 3-line block ×5, first 2 shown]
	s_waitcnt lgkmcnt(0)
	v_min_i32_e32 v25, v3, v0
	v_cmp_le_i32_e32 vcc, s10, v25
	s_or_b64 s[6:7], vcc, s[6:7]
	s_andn2_b64 exec, exec, s[6:7]
	s_cbranch_execz .LBB1_39
.LBB1_11:                               ; =>This Loop Header: Depth=1
                                        ;     Child Loop BB1_14 Depth 2
                                        ;     Child Loop BB1_27 Depth 2
	v_cmp_lt_i32_e32 vcc, v2, v14
	v_mov_b32_e32 v28, s10
	ds_write_b8 v26, v1
	ds_write_b128 v17, v[30:33]
	s_waitcnt lgkmcnt(0)
	s_and_saveexec_b64 s[8:9], vcc
	s_cbranch_execz .LBB1_24
; %bb.12:                               ;   in Loop: Header=BB1_11 Depth=1
	v_lshlrev_b32_e32 v0, 2, v2
	s_mov_b64 s[28:29], 0
	v_mov_b32_e32 v28, s10
	s_branch .LBB1_14
.LBB1_13:                               ;   in Loop: Header=BB1_14 Depth=2
	s_or_b64 exec, exec, s[34:35]
	s_and_b64 s[2:3], exec, s[30:31]
	s_or_b64 s[28:29], s[2:3], s[28:29]
	s_andn2_b64 exec, exec, s[28:29]
	s_cbranch_execz .LBB1_23
.LBB1_14:                               ;   Parent Loop BB1_11 Depth=1
                                        ; =>  This Inner Loop Header: Depth=2
	v_ashrrev_i32_e32 v3, 31, v2
	v_lshl_add_u64 v[8:9], v[2:3], 2, s[14:15]
	global_load_dword v3, v[8:9], off
	s_waitcnt vmcnt(0)
	v_subrev_u32_e32 v5, s4, v3
	v_sub_u32_e32 v3, v5, v25
	v_cmp_gt_u32_e64 s[2:3], 64, v3
	v_cmp_lt_u32_e32 vcc, 63, v3
	s_and_saveexec_b64 s[30:31], vcc
	s_xor_b64 s[30:31], exec, s[30:31]
; %bb.15:                               ;   in Loop: Header=BB1_14 Depth=2
	v_min_i32_e32 v28, v5, v28
                                        ; implicit-def: $vgpr3
; %bb.16:                               ;   in Loop: Header=BB1_14 Depth=2
	s_andn2_saveexec_b64 s[30:31], s[30:31]
	s_cbranch_execz .LBB1_21
; %bb.17:                               ;   in Loop: Header=BB1_14 Depth=2
	v_lshl_add_u64 v[8:9], v[0:1], 2, s[12:13]
	global_load_dword v5, v[8:9], off
	v_add_u32_e32 v10, v12, v3
	v_lshlrev_b32_e32 v3, 4, v3
	s_and_b64 vcc, exec, s[0:1]
	v_add_u32_e32 v3, v13, v3
	s_mov_b64 s[34:35], -1
	ds_write_b8 v10, v27
	s_waitcnt vmcnt(0)
	v_mul_f32_e32 v5, s24, v5
	ds_write_b32 v3, v5
	s_cbranch_vccnz .LBB1_19
; %bb.18:                               ;   in Loop: Header=BB1_14 Depth=2
	global_load_dwordx3 v[34:36], v[8:9], off offset:4
	s_mov_b64 s[34:35], 0
	s_waitcnt vmcnt(0)
	v_pk_mul_f32 v[10:11], s[24:25], v[34:35] op_sel:[0,1] op_sel_hi:[1,0]
	v_mul_f32_e32 v5, s24, v36
	ds_write2_b32 v3, v10, v11 offset0:1 offset1:2
	ds_write_b32 v3, v5 offset:12
.LBB1_19:                               ;   in Loop: Header=BB1_14 Depth=2
	s_andn2_b64 vcc, exec, s[34:35]
	s_cbranch_vccnz .LBB1_21
; %bb.20:                               ;   in Loop: Header=BB1_14 Depth=2
	global_load_dwordx3 v[8:10], v[8:9], off offset:4
	s_waitcnt vmcnt(0)
	v_pk_mul_f32 v[8:9], s[24:25], v[8:9]
	v_mul_f32_e32 v5, s24, v10
	ds_write2_b32 v3, v8, v9 offset0:1 offset1:2
	ds_write_b32 v3, v5 offset:12
.LBB1_21:                               ;   in Loop: Header=BB1_14 Depth=2
	s_or_b64 exec, exec, s[30:31]
	s_mov_b64 s[30:31], -1
	s_and_saveexec_b64 s[34:35], s[2:3]
	s_cbranch_execz .LBB1_13
; %bb.22:                               ;   in Loop: Header=BB1_14 Depth=2
	v_add_u32_e32 v2, 64, v2
	v_cmp_ge_i32_e32 vcc, v2, v14
	v_add_u32_e32 v0, 0x100, v0
	s_orn2_b64 s[30:31], vcc, exec
	s_branch .LBB1_13
.LBB1_23:                               ;   in Loop: Header=BB1_11 Depth=1
	s_or_b64 exec, exec, s[28:29]
.LBB1_24:                               ;   in Loop: Header=BB1_11 Depth=1
	s_or_b64 exec, exec, s[8:9]
	v_cmp_lt_i32_e32 vcc, v4, v15
	s_waitcnt lgkmcnt(0)
	s_and_saveexec_b64 s[8:9], vcc
	s_cbranch_execz .LBB1_37
; %bb.25:                               ;   in Loop: Header=BB1_11 Depth=1
	v_lshlrev_b32_e32 v0, 2, v4
	s_mov_b64 s[28:29], 0
	s_branch .LBB1_27
.LBB1_26:                               ;   in Loop: Header=BB1_27 Depth=2
	s_or_b64 exec, exec, s[34:35]
	s_and_b64 s[2:3], exec, s[30:31]
	s_or_b64 s[28:29], s[2:3], s[28:29]
	s_andn2_b64 exec, exec, s[28:29]
	s_cbranch_execz .LBB1_36
.LBB1_27:                               ;   Parent Loop BB1_11 Depth=1
                                        ; =>  This Inner Loop Header: Depth=2
	v_ashrrev_i32_e32 v5, 31, v4
	v_lshl_add_u64 v[8:9], v[4:5], 2, s[18:19]
	global_load_dword v3, v[8:9], off
	s_waitcnt vmcnt(0)
	v_subrev_u32_e32 v3, s5, v3
	v_sub_u32_e32 v5, v3, v25
	v_cmp_gt_u32_e64 s[2:3], 64, v5
	v_cmp_lt_u32_e32 vcc, 63, v5
	s_and_saveexec_b64 s[30:31], vcc
	s_xor_b64 s[30:31], exec, s[30:31]
; %bb.28:                               ;   in Loop: Header=BB1_27 Depth=2
	v_min_i32_e32 v28, v3, v28
                                        ; implicit-def: $vgpr5
; %bb.29:                               ;   in Loop: Header=BB1_27 Depth=2
	s_andn2_saveexec_b64 s[30:31], s[30:31]
	s_cbranch_execz .LBB1_34
; %bb.30:                               ;   in Loop: Header=BB1_27 Depth=2
	v_lshl_add_u64 v[8:9], v[0:1], 2, s[16:17]
	global_load_dword v29, v[8:9], off
	v_lshlrev_b32_e32 v3, 4, v5
	v_add_u32_e32 v3, v13, v3
	ds_read_b64 v[10:11], v3
	v_add_u32_e32 v5, v12, v5
	s_and_b64 vcc, exec, s[0:1]
	s_mov_b64 s[34:35], -1
	ds_write_b8 v5, v27
	s_waitcnt vmcnt(0) lgkmcnt(1)
	v_fmac_f32_e32 v10, s26, v29
	ds_write_b32 v3, v10
	s_cbranch_vccnz .LBB1_32
; %bb.31:                               ;   in Loop: Header=BB1_27 Depth=2
	global_load_dwordx3 v[34:36], v[8:9], off offset:4
	ds_read_b64 v[38:39], v3 offset:8
	v_mov_b32_e32 v40, v11
	s_mov_b64 s[34:35], 0
	s_waitcnt lgkmcnt(0)
	v_mov_b32_e32 v41, v38
	s_waitcnt vmcnt(0)
	v_pk_fma_f32 v[34:35], s[26:27], v[34:35], v[40:41] op_sel:[0,1,0] op_sel_hi:[1,0,1]
	v_fmac_f32_e32 v39, s26, v36
	ds_write2_b32 v3, v34, v35 offset0:1 offset1:2
	ds_write_b32 v3, v39 offset:12
.LBB1_32:                               ;   in Loop: Header=BB1_27 Depth=2
	s_andn2_b64 vcc, exec, s[34:35]
	s_cbranch_vccnz .LBB1_34
; %bb.33:                               ;   in Loop: Header=BB1_27 Depth=2
	global_load_dwordx3 v[8:10], v[8:9], off offset:4
	ds_read_b64 v[34:35], v3 offset:8
	v_mov_b32_e32 v36, v11
	s_waitcnt lgkmcnt(0)
	v_mov_b32_e32 v37, v34
	s_waitcnt vmcnt(0)
	v_pk_fma_f32 v[8:9], s[26:27], v[8:9], v[36:37]
	v_fmac_f32_e32 v35, s26, v10
	ds_write2_b32 v3, v8, v9 offset0:1 offset1:2
	ds_write_b32 v3, v35 offset:12
.LBB1_34:                               ;   in Loop: Header=BB1_27 Depth=2
	s_or_b64 exec, exec, s[30:31]
	s_mov_b64 s[30:31], -1
	s_and_saveexec_b64 s[34:35], s[2:3]
	s_cbranch_execz .LBB1_26
; %bb.35:                               ;   in Loop: Header=BB1_27 Depth=2
	v_add_u32_e32 v4, 64, v4
	v_cmp_ge_i32_e32 vcc, v4, v15
	v_add_u32_e32 v0, 0x100, v0
	s_orn2_b64 s[30:31], vcc, exec
	s_branch .LBB1_26
.LBB1_36:                               ;   in Loop: Header=BB1_11 Depth=1
	s_or_b64 exec, exec, s[28:29]
.LBB1_37:                               ;   in Loop: Header=BB1_11 Depth=1
	s_or_b64 exec, exec, s[8:9]
	s_waitcnt lgkmcnt(0)
	ds_read_u8 v0, v26
	s_waitcnt lgkmcnt(0)
	v_and_b32_e32 v3, 1, v0
	v_cmp_eq_u32_e64 s[2:3], 1, v3
	v_cmp_ne_u16_e32 vcc, 0, v0
	s_and_saveexec_b64 s[8:9], s[2:3]
	s_cbranch_execz .LBB1_10
; %bb.38:                               ;   in Loop: Header=BB1_11 Depth=1
	v_and_b32_e32 v3, vcc_lo, v6
	v_and_b32_e32 v0, vcc_hi, v7
	v_bcnt_u32_b32 v3, v3, 0
	v_bcnt_u32_b32 v0, v0, v3
	v_add3_u32 v8, v16, v0, -1
	v_ashrrev_i32_e32 v9, 31, v8
	v_add_u32_e32 v3, v18, v25
	v_lshl_add_u64 v[10:11], v[8:9], 2, s[20:21]
	global_store_dword v[10:11], v3, off
	v_add_u32_e32 v0, s11, v17
	v_add_u32_e32 v3, s33, v17
	ds_read2_b32 v[10:11], v17 offset1:3
	ds_read_b32 v35, v0
	ds_read_b32 v36, v3
	v_lshlrev_b32_e32 v0, 2, v8
	v_lshl_add_u64 v[8:9], v[0:1], 2, s[22:23]
	s_waitcnt lgkmcnt(2)
	v_mov_b32_e32 v34, v10
	v_mov_b32_e32 v37, v11
	s_waitcnt lgkmcnt(0)
	global_store_dwordx4 v[8:9], v[34:37], off
	s_branch .LBB1_10
.LBB1_39:
	s_endpgm
	.section	.rodata,"a",@progbits
	.p2align	6, 0x0
	.amdhsa_kernel _ZN9rocsparseL39bsrgeam_wf_per_row_multipass_2_3_kernelILj256ELj2ELj64EfEEv20rocsparse_direction_iiiNS_24const_host_device_scalarIT2_EEPKiS6_PKS3_S4_S6_S6_S8_S6_PiPS3_21rocsparse_index_base_SB_SB_b
		.amdhsa_group_segment_fixed_size 4352
		.amdhsa_private_segment_fixed_size 0
		.amdhsa_kernarg_size 120
		.amdhsa_user_sgpr_count 2
		.amdhsa_user_sgpr_dispatch_ptr 0
		.amdhsa_user_sgpr_queue_ptr 0
		.amdhsa_user_sgpr_kernarg_segment_ptr 1
		.amdhsa_user_sgpr_dispatch_id 0
		.amdhsa_user_sgpr_kernarg_preload_length 0
		.amdhsa_user_sgpr_kernarg_preload_offset 0
		.amdhsa_user_sgpr_private_segment_size 0
		.amdhsa_uses_dynamic_stack 0
		.amdhsa_enable_private_segment 0
		.amdhsa_system_sgpr_workgroup_id_x 1
		.amdhsa_system_sgpr_workgroup_id_y 0
		.amdhsa_system_sgpr_workgroup_id_z 0
		.amdhsa_system_sgpr_workgroup_info 0
		.amdhsa_system_vgpr_workitem_id 0
		.amdhsa_next_free_vgpr 42
		.amdhsa_next_free_sgpr 36
		.amdhsa_accum_offset 44
		.amdhsa_reserve_vcc 1
		.amdhsa_float_round_mode_32 0
		.amdhsa_float_round_mode_16_64 0
		.amdhsa_float_denorm_mode_32 3
		.amdhsa_float_denorm_mode_16_64 3
		.amdhsa_dx10_clamp 1
		.amdhsa_ieee_mode 1
		.amdhsa_fp16_overflow 0
		.amdhsa_tg_split 0
		.amdhsa_exception_fp_ieee_invalid_op 0
		.amdhsa_exception_fp_denorm_src 0
		.amdhsa_exception_fp_ieee_div_zero 0
		.amdhsa_exception_fp_ieee_overflow 0
		.amdhsa_exception_fp_ieee_underflow 0
		.amdhsa_exception_fp_ieee_inexact 0
		.amdhsa_exception_int_div_zero 0
	.end_amdhsa_kernel
	.section	.text._ZN9rocsparseL39bsrgeam_wf_per_row_multipass_2_3_kernelILj256ELj2ELj64EfEEv20rocsparse_direction_iiiNS_24const_host_device_scalarIT2_EEPKiS6_PKS3_S4_S6_S6_S8_S6_PiPS3_21rocsparse_index_base_SB_SB_b,"axG",@progbits,_ZN9rocsparseL39bsrgeam_wf_per_row_multipass_2_3_kernelILj256ELj2ELj64EfEEv20rocsparse_direction_iiiNS_24const_host_device_scalarIT2_EEPKiS6_PKS3_S4_S6_S6_S8_S6_PiPS3_21rocsparse_index_base_SB_SB_b,comdat
.Lfunc_end1:
	.size	_ZN9rocsparseL39bsrgeam_wf_per_row_multipass_2_3_kernelILj256ELj2ELj64EfEEv20rocsparse_direction_iiiNS_24const_host_device_scalarIT2_EEPKiS6_PKS3_S4_S6_S6_S8_S6_PiPS3_21rocsparse_index_base_SB_SB_b, .Lfunc_end1-_ZN9rocsparseL39bsrgeam_wf_per_row_multipass_2_3_kernelILj256ELj2ELj64EfEEv20rocsparse_direction_iiiNS_24const_host_device_scalarIT2_EEPKiS6_PKS3_S4_S6_S6_S8_S6_PiPS3_21rocsparse_index_base_SB_SB_b
                                        ; -- End function
	.set _ZN9rocsparseL39bsrgeam_wf_per_row_multipass_2_3_kernelILj256ELj2ELj64EfEEv20rocsparse_direction_iiiNS_24const_host_device_scalarIT2_EEPKiS6_PKS3_S4_S6_S6_S8_S6_PiPS3_21rocsparse_index_base_SB_SB_b.num_vgpr, 42
	.set _ZN9rocsparseL39bsrgeam_wf_per_row_multipass_2_3_kernelILj256ELj2ELj64EfEEv20rocsparse_direction_iiiNS_24const_host_device_scalarIT2_EEPKiS6_PKS3_S4_S6_S6_S8_S6_PiPS3_21rocsparse_index_base_SB_SB_b.num_agpr, 0
	.set _ZN9rocsparseL39bsrgeam_wf_per_row_multipass_2_3_kernelILj256ELj2ELj64EfEEv20rocsparse_direction_iiiNS_24const_host_device_scalarIT2_EEPKiS6_PKS3_S4_S6_S6_S8_S6_PiPS3_21rocsparse_index_base_SB_SB_b.numbered_sgpr, 36
	.set _ZN9rocsparseL39bsrgeam_wf_per_row_multipass_2_3_kernelILj256ELj2ELj64EfEEv20rocsparse_direction_iiiNS_24const_host_device_scalarIT2_EEPKiS6_PKS3_S4_S6_S6_S8_S6_PiPS3_21rocsparse_index_base_SB_SB_b.num_named_barrier, 0
	.set _ZN9rocsparseL39bsrgeam_wf_per_row_multipass_2_3_kernelILj256ELj2ELj64EfEEv20rocsparse_direction_iiiNS_24const_host_device_scalarIT2_EEPKiS6_PKS3_S4_S6_S6_S8_S6_PiPS3_21rocsparse_index_base_SB_SB_b.private_seg_size, 0
	.set _ZN9rocsparseL39bsrgeam_wf_per_row_multipass_2_3_kernelILj256ELj2ELj64EfEEv20rocsparse_direction_iiiNS_24const_host_device_scalarIT2_EEPKiS6_PKS3_S4_S6_S6_S8_S6_PiPS3_21rocsparse_index_base_SB_SB_b.uses_vcc, 1
	.set _ZN9rocsparseL39bsrgeam_wf_per_row_multipass_2_3_kernelILj256ELj2ELj64EfEEv20rocsparse_direction_iiiNS_24const_host_device_scalarIT2_EEPKiS6_PKS3_S4_S6_S6_S8_S6_PiPS3_21rocsparse_index_base_SB_SB_b.uses_flat_scratch, 0
	.set _ZN9rocsparseL39bsrgeam_wf_per_row_multipass_2_3_kernelILj256ELj2ELj64EfEEv20rocsparse_direction_iiiNS_24const_host_device_scalarIT2_EEPKiS6_PKS3_S4_S6_S6_S8_S6_PiPS3_21rocsparse_index_base_SB_SB_b.has_dyn_sized_stack, 0
	.set _ZN9rocsparseL39bsrgeam_wf_per_row_multipass_2_3_kernelILj256ELj2ELj64EfEEv20rocsparse_direction_iiiNS_24const_host_device_scalarIT2_EEPKiS6_PKS3_S4_S6_S6_S8_S6_PiPS3_21rocsparse_index_base_SB_SB_b.has_recursion, 0
	.set _ZN9rocsparseL39bsrgeam_wf_per_row_multipass_2_3_kernelILj256ELj2ELj64EfEEv20rocsparse_direction_iiiNS_24const_host_device_scalarIT2_EEPKiS6_PKS3_S4_S6_S6_S8_S6_PiPS3_21rocsparse_index_base_SB_SB_b.has_indirect_call, 0
	.section	.AMDGPU.csdata,"",@progbits
; Kernel info:
; codeLenInByte = 1592
; TotalNumSgprs: 42
; NumVgprs: 42
; NumAgprs: 0
; TotalNumVgprs: 42
; ScratchSize: 0
; MemoryBound: 0
; FloatMode: 240
; IeeeMode: 1
; LDSByteSize: 4352 bytes/workgroup (compile time only)
; SGPRBlocks: 5
; VGPRBlocks: 5
; NumSGPRsForWavesPerEU: 42
; NumVGPRsForWavesPerEU: 42
; AccumOffset: 44
; Occupancy: 8
; WaveLimiterHint : 1
; COMPUTE_PGM_RSRC2:SCRATCH_EN: 0
; COMPUTE_PGM_RSRC2:USER_SGPR: 2
; COMPUTE_PGM_RSRC2:TRAP_HANDLER: 0
; COMPUTE_PGM_RSRC2:TGID_X_EN: 1
; COMPUTE_PGM_RSRC2:TGID_Y_EN: 0
; COMPUTE_PGM_RSRC2:TGID_Z_EN: 0
; COMPUTE_PGM_RSRC2:TIDIG_COMP_CNT: 0
; COMPUTE_PGM_RSRC3_GFX90A:ACCUM_OFFSET: 10
; COMPUTE_PGM_RSRC3_GFX90A:TG_SPLIT: 0
	.section	.text._ZN9rocsparseL39bsrgeam_wf_per_row_multipass_2_3_kernelILj256ELj3ELj32EfEEv20rocsparse_direction_iiiNS_24const_host_device_scalarIT2_EEPKiS6_PKS3_S4_S6_S6_S8_S6_PiPS3_21rocsparse_index_base_SB_SB_b,"axG",@progbits,_ZN9rocsparseL39bsrgeam_wf_per_row_multipass_2_3_kernelILj256ELj3ELj32EfEEv20rocsparse_direction_iiiNS_24const_host_device_scalarIT2_EEPKiS6_PKS3_S4_S6_S6_S8_S6_PiPS3_21rocsparse_index_base_SB_SB_b,comdat
	.globl	_ZN9rocsparseL39bsrgeam_wf_per_row_multipass_2_3_kernelILj256ELj3ELj32EfEEv20rocsparse_direction_iiiNS_24const_host_device_scalarIT2_EEPKiS6_PKS3_S4_S6_S6_S8_S6_PiPS3_21rocsparse_index_base_SB_SB_b ; -- Begin function _ZN9rocsparseL39bsrgeam_wf_per_row_multipass_2_3_kernelILj256ELj3ELj32EfEEv20rocsparse_direction_iiiNS_24const_host_device_scalarIT2_EEPKiS6_PKS3_S4_S6_S6_S8_S6_PiPS3_21rocsparse_index_base_SB_SB_b
	.p2align	8
	.type	_ZN9rocsparseL39bsrgeam_wf_per_row_multipass_2_3_kernelILj256ELj3ELj32EfEEv20rocsparse_direction_iiiNS_24const_host_device_scalarIT2_EEPKiS6_PKS3_S4_S6_S6_S8_S6_PiPS3_21rocsparse_index_base_SB_SB_b,@function
_ZN9rocsparseL39bsrgeam_wf_per_row_multipass_2_3_kernelILj256ELj3ELj32EfEEv20rocsparse_direction_iiiNS_24const_host_device_scalarIT2_EEPKiS6_PKS3_S4_S6_S6_S8_S6_PiPS3_21rocsparse_index_base_SB_SB_b: ; @_ZN9rocsparseL39bsrgeam_wf_per_row_multipass_2_3_kernelILj256ELj3ELj32EfEEv20rocsparse_direction_iiiNS_24const_host_device_scalarIT2_EEPKiS6_PKS3_S4_S6_S6_S8_S6_PiPS3_21rocsparse_index_base_SB_SB_b
; %bb.0:
	s_load_dwordx4 s[4:7], s[0:1], 0x68
	s_load_dwordx2 s[24:25], s[0:1], 0x10
	s_load_dwordx2 s[26:27], s[0:1], 0x30
	s_waitcnt lgkmcnt(0)
	s_bitcmp1_b32 s7, 0
	s_cselect_b64 s[10:11], -1, 0
	s_xor_b64 s[8:9], s[10:11], -1
	s_and_b64 vcc, exec, s[10:11]
	s_cbranch_vccnz .LBB2_2
; %bb.1:
	s_load_dword s24, s[24:25], 0x0
.LBB2_2:
	s_andn2_b64 vcc, exec, s[8:9]
	s_cbranch_vccnz .LBB2_4
; %bb.3:
	s_load_dword s26, s[26:27], 0x0
.LBB2_4:
	s_nop 0
	s_load_dwordx4 s[8:11], s[0:1], 0x0
	s_lshl_b32 s2, s2, 3
	v_lshrrev_b32_e32 v1, 5, v0
	s_and_b32 s2, s2, 0x7fffff8
	v_or_b32_e32 v2, s2, v1
	s_waitcnt lgkmcnt(0)
	v_cmp_gt_i32_e32 vcc, s9, v2
	s_and_saveexec_b64 s[2:3], vcc
	s_cbranch_execz .LBB2_39
; %bb.5:
	s_load_dwordx4 s[12:15], s[0:1], 0x18
	s_load_dwordx4 s[16:19], s[0:1], 0x38
	s_load_dwordx2 s[2:3], s[0:1], 0x50
	v_lshlrev_b32_e32 v6, 2, v2
	s_waitcnt lgkmcnt(0)
	global_load_dwordx2 v[2:3], v6, s[12:13]
	global_load_dwordx2 v[4:5], v6, s[16:17]
	global_load_dword v10, v6, s[2:3]
	s_waitcnt vmcnt(2)
	v_subrev_u32_e32 v6, s4, v2
	v_cmp_lt_i32_e32 vcc, v2, v3
	v_mov_b32_e32 v2, s10
	s_and_saveexec_b64 s[2:3], vcc
	s_cbranch_execz .LBB2_7
; %bb.6:
	v_ashrrev_i32_e32 v7, 31, v6
	v_lshl_add_u64 v[8:9], v[6:7], 2, s[14:15]
	global_load_dword v2, v[8:9], off
	s_waitcnt vmcnt(0)
	v_subrev_u32_e32 v2, s4, v2
.LBB2_7:
	s_or_b64 exec, exec, s[2:3]
	s_load_dwordx4 s[20:23], s[0:1], 0x58
	s_load_dwordx2 s[12:13], s[0:1], 0x28
	s_load_dwordx2 s[16:17], s[0:1], 0x48
	s_waitcnt vmcnt(1)
	v_subrev_u32_e32 v8, s5, v4
	v_cmp_lt_i32_e32 vcc, v4, v5
	v_mov_b32_e32 v4, s10
	s_and_saveexec_b64 s[0:1], vcc
	s_cbranch_execz .LBB2_9
; %bb.8:
	v_ashrrev_i32_e32 v9, 31, v8
	v_lshl_add_u64 v[12:13], v[8:9], 2, s[18:19]
	global_load_dword v4, v[12:13], off
	s_waitcnt vmcnt(0)
	v_subrev_u32_e32 v4, s5, v4
.LBB2_9:
	s_or_b64 exec, exec, s[0:1]
	v_subrev_u32_e32 v24, s4, v3
	v_and_b32_e32 v3, 31, v0
	s_movk_i32 s0, 0x480
	v_subrev_u32_e32 v25, s5, v5
	v_mul_u32_u24_e32 v5, 36, v3
	v_mad_u32_u24 v27, v1, s0, v5
	v_mbcnt_lo_u32_b32 v5, -1, 0
	v_mbcnt_hi_u32_b32 v5, -1, v5
	v_and_b32_e32 v7, 0xe0, v0
	v_min_i32_e32 v37, v4, v2
	v_add_u32_e32 v2, v6, v3
	v_and_b32_e32 v6, 64, v5
	v_bitop3_b32 v0, v0, 31, v0 bitop3:0xc
	v_add_u32_e32 v6, 64, v6
	v_lshrrev_b32_e64 v28, v0, -1
	v_xor_b32_e32 v0, 16, v5
	v_cmp_lt_i32_e32 vcc, v0, v6
	s_cmp_lg_u32 s8, 0
	s_cselect_b64 s[0:1], -1, 0
	v_cndmask_b32_e32 v0, v5, v0, vcc
	v_lshlrev_b32_e32 v30, 2, v0
	v_xor_b32_e32 v0, 8, v5
	v_cmp_lt_i32_e32 vcc, v0, v6
	v_or_b32_e32 v22, 0x2400, v7
	s_cmp_eq_u32 s8, 0
	v_cndmask_b32_e32 v0, v5, v0, vcc
	v_lshlrev_b32_e32 v31, 2, v0
	v_xor_b32_e32 v0, 4, v5
	v_cmp_lt_i32_e32 vcc, v0, v6
	v_mul_u32_u24_e32 v23, 0x480, v1
	s_waitcnt vmcnt(0)
	v_subrev_u32_e32 v26, s6, v10
	v_cndmask_b32_e32 v0, v5, v0, vcc
	v_lshlrev_b32_e32 v32, 2, v0
	v_xor_b32_e32 v0, 2, v5
	v_cmp_lt_i32_e32 vcc, v0, v6
	v_add_u32_e32 v4, v8, v3
	v_mov_b32_e32 v1, 0
	v_cndmask_b32_e32 v0, v5, v0, vcc
	v_lshlrev_b32_e32 v33, 2, v0
	v_xor_b32_e32 v0, 1, v5
	v_cmp_lt_i32_e32 vcc, v0, v6
	v_add_u32_e32 v29, s6, v3
	s_cselect_b32 s11, 4, 12
	v_cndmask_b32_e32 v0, v5, v0, vcc
	v_lshlrev_b32_e32 v34, 2, v0
	v_cndmask_b32_e64 v0, 0, 1, s[0:1]
	s_cselect_b32 s33, 8, 24
	s_cselect_b32 s36, 12, 4
	;; [unrolled: 1-line block ×5, first 2 shown]
	s_mov_b32 s25, s24
	s_mov_b32 s27, s26
	s_mov_b64 s[6:7], 0
	v_add_u32_e32 v35, v22, v3
	v_mov_b32_e32 v36, 1
	v_cmp_ne_u32_e64 s[0:1], 1, v0
	s_branch .LBB2_11
.LBB2_10:                               ;   in Loop: Header=BB2_11 Depth=1
	s_or_b64 exec, exec, s[8:9]
	ds_bpermute_b32 v0, v30, v38
	s_bcnt1_i32_b64 s2, vcc
	v_add_u32_e32 v26, s2, v26
	s_waitcnt lgkmcnt(0)
	v_min_i32_e32 v0, v0, v38
	ds_bpermute_b32 v3, v31, v0
	s_waitcnt lgkmcnt(0)
	v_min_i32_e32 v0, v3, v0
	ds_bpermute_b32 v3, v32, v0
	;; [unrolled: 3-line block ×4, first 2 shown]
	s_waitcnt lgkmcnt(0)
	v_min_i32_e32 v37, v3, v0
	v_cmp_le_i32_e32 vcc, s10, v37
	s_or_b64 s[6:7], vcc, s[6:7]
	s_andn2_b64 exec, exec, s[6:7]
	s_cbranch_execz .LBB2_39
.LBB2_11:                               ; =>This Loop Header: Depth=1
                                        ;     Child Loop BB2_14 Depth 2
                                        ;     Child Loop BB2_27 Depth 2
	v_cmp_lt_i32_e32 vcc, v2, v24
	v_mov_b32_e32 v38, s10
	ds_write_b8 v35, v1
	ds_write2_b32 v27, v1, v1 offset1:1
	ds_write2_b32 v27, v1, v1 offset0:2 offset1:3
	ds_write2_b32 v27, v1, v1 offset0:4 offset1:5
	;; [unrolled: 1-line block ×3, first 2 shown]
	ds_write_b32 v27, v1 offset:32
	s_waitcnt lgkmcnt(0)
	s_and_saveexec_b64 s[8:9], vcc
	s_cbranch_execz .LBB2_24
; %bb.12:                               ;   in Loop: Header=BB2_11 Depth=1
	v_mad_u64_u32 v[6:7], s[2:3], v2, 9, 8
	s_mov_b64 s[28:29], 0
	v_mov_b32_e32 v38, s10
	s_branch .LBB2_14
.LBB2_13:                               ;   in Loop: Header=BB2_14 Depth=2
	s_or_b64 exec, exec, s[34:35]
	s_and_b64 s[2:3], exec, s[30:31]
	s_or_b64 s[28:29], s[2:3], s[28:29]
	s_andn2_b64 exec, exec, s[28:29]
	s_cbranch_execz .LBB2_23
.LBB2_14:                               ;   Parent Loop BB2_11 Depth=1
                                        ; =>  This Inner Loop Header: Depth=2
	v_ashrrev_i32_e32 v3, 31, v2
	v_lshl_add_u64 v[8:9], v[2:3], 2, s[14:15]
	global_load_dword v0, v[8:9], off
	s_waitcnt vmcnt(0)
	v_subrev_u32_e32 v0, s4, v0
	v_sub_u32_e32 v3, v0, v37
	v_cmp_gt_u32_e64 s[2:3], 32, v3
	v_cmp_lt_u32_e32 vcc, 31, v3
	s_and_saveexec_b64 s[30:31], vcc
	s_xor_b64 s[30:31], exec, s[30:31]
; %bb.15:                               ;   in Loop: Header=BB2_14 Depth=2
	v_min_i32_e32 v38, v0, v38
                                        ; implicit-def: $vgpr3
; %bb.16:                               ;   in Loop: Header=BB2_14 Depth=2
	s_andn2_saveexec_b64 s[30:31], s[30:31]
	s_cbranch_execz .LBB2_21
; %bb.17:                               ;   in Loop: Header=BB2_14 Depth=2
	v_add_u32_e32 v0, -8, v6
	v_lshl_add_u64 v[8:9], v[0:1], 2, s[12:13]
	global_load_dword v5, v[8:9], off
	v_add_u32_e32 v0, v22, v3
	v_mul_lo_u32 v3, v3, 36
	ds_write_b8 v0, v36
	v_add_u32_e32 v0, -4, v6
	s_mov_b64 s[34:35], -1
	s_and_b64 vcc, exec, s[0:1]
	v_add_u32_e32 v12, -2, v6
	v_add_u32_e32 v18, -7, v6
	v_add_u32_e32 v10, -1, v6
	v_add_u32_e32 v16, -6, v6
	v_add_u32_e32 v3, v23, v3
	v_lshl_add_u64 v[8:9], v[0:1], 2, s[12:13]
	v_add_u32_e32 v0, -5, v6
	v_add_u32_e32 v14, -3, v6
	s_waitcnt vmcnt(0)
	v_mul_f32_e32 v5, s24, v5
	ds_write_b32 v3, v5
	s_cbranch_vccnz .LBB2_19
; %bb.18:                               ;   in Loop: Header=BB2_14 Depth=2
	v_lshl_add_u64 v[20:21], v[0:1], 2, s[12:13]
	v_mov_b32_e32 v13, v1
	v_mov_b32_e32 v19, v1
	;; [unrolled: 1-line block ×6, first 2 shown]
	v_lshl_add_u64 v[40:41], v[12:13], 2, s[12:13]
	v_lshl_add_u64 v[42:43], v[18:19], 2, s[12:13]
	;; [unrolled: 1-line block ×6, first 2 shown]
	global_load_dword v52, v[20:21], off
	global_load_dword v53, v[40:41], off
	;; [unrolled: 1-line block ×8, first 2 shown]
	s_mov_b64 s[34:35], 0
	s_waitcnt vmcnt(6)
	v_pk_mul_f32 v[20:21], s[24:25], v[52:53]
	s_waitcnt vmcnt(3)
	v_pk_mul_f32 v[42:43], s[24:25], v[56:57]
	;; [unrolled: 2-line block ×4, first 2 shown]
	ds_write2_b32 v3, v20, v21 offset0:1 offset1:2
	ds_write2_b32 v3, v40, v41 offset0:3 offset1:4
	;; [unrolled: 1-line block ×4, first 2 shown]
.LBB2_19:                               ;   in Loop: Header=BB2_14 Depth=2
	s_andn2_b64 vcc, exec, s[34:35]
	s_cbranch_vccnz .LBB2_21
; %bb.20:                               ;   in Loop: Header=BB2_14 Depth=2
	v_mov_b32_e32 v19, v1
	v_lshl_add_u64 v[18:19], v[18:19], 2, s[12:13]
	v_mov_b32_e32 v17, v1
	v_mov_b32_e32 v15, v1
	;; [unrolled: 1-line block ×5, first 2 shown]
	v_lshl_add_u64 v[16:17], v[16:17], 2, s[12:13]
	v_lshl_add_u64 v[20:21], v[0:1], 2, s[12:13]
	;; [unrolled: 1-line block ×6, first 2 shown]
	global_load_dword v42, v[18:19], off
	global_load_dword v43, v[16:17], off
	;; [unrolled: 1-line block ×8, first 2 shown]
	s_waitcnt vmcnt(6)
	v_pk_mul_f32 v[8:9], s[24:25], v[42:43]
	s_waitcnt vmcnt(3)
	v_pk_mul_f32 v[12:13], s[24:25], v[46:47]
	s_waitcnt vmcnt(1)
	v_pk_mul_f32 v[14:15], s[24:25], v[48:49]
	s_waitcnt vmcnt(0)
	v_pk_mul_f32 v[10:11], s[24:25], v[44:45]
	ds_write2_b32 v3, v8, v9 offset0:1 offset1:2
	ds_write2_b32 v3, v10, v11 offset0:3 offset1:4
	;; [unrolled: 1-line block ×4, first 2 shown]
.LBB2_21:                               ;   in Loop: Header=BB2_14 Depth=2
	s_or_b64 exec, exec, s[30:31]
	s_mov_b64 s[30:31], -1
	s_and_saveexec_b64 s[34:35], s[2:3]
	s_cbranch_execz .LBB2_13
; %bb.22:                               ;   in Loop: Header=BB2_14 Depth=2
	v_add_u32_e32 v2, 32, v2
	v_cmp_ge_i32_e32 vcc, v2, v24
	v_add_u32_e32 v6, 0x120, v6
	s_orn2_b64 s[30:31], vcc, exec
	s_branch .LBB2_13
.LBB2_23:                               ;   in Loop: Header=BB2_11 Depth=1
	s_or_b64 exec, exec, s[28:29]
.LBB2_24:                               ;   in Loop: Header=BB2_11 Depth=1
	s_or_b64 exec, exec, s[8:9]
	v_cmp_lt_i32_e32 vcc, v4, v25
	s_waitcnt lgkmcnt(0)
	s_and_saveexec_b64 s[8:9], vcc
	s_cbranch_execz .LBB2_37
; %bb.25:                               ;   in Loop: Header=BB2_11 Depth=1
	v_mad_u64_u32 v[6:7], s[2:3], v4, 9, 8
	s_mov_b64 s[28:29], 0
	s_branch .LBB2_27
.LBB2_26:                               ;   in Loop: Header=BB2_27 Depth=2
	s_or_b64 exec, exec, s[34:35]
	s_and_b64 s[2:3], exec, s[30:31]
	s_or_b64 s[28:29], s[2:3], s[28:29]
	s_andn2_b64 exec, exec, s[28:29]
	s_cbranch_execz .LBB2_36
.LBB2_27:                               ;   Parent Loop BB2_11 Depth=1
                                        ; =>  This Inner Loop Header: Depth=2
	v_ashrrev_i32_e32 v5, 31, v4
	v_lshl_add_u64 v[8:9], v[4:5], 2, s[18:19]
	global_load_dword v0, v[8:9], off
	s_waitcnt vmcnt(0)
	v_subrev_u32_e32 v0, s5, v0
	v_sub_u32_e32 v3, v0, v37
	v_cmp_gt_u32_e64 s[2:3], 32, v3
	v_cmp_lt_u32_e32 vcc, 31, v3
	s_and_saveexec_b64 s[30:31], vcc
	s_xor_b64 s[30:31], exec, s[30:31]
; %bb.28:                               ;   in Loop: Header=BB2_27 Depth=2
	v_min_i32_e32 v38, v0, v38
                                        ; implicit-def: $vgpr3
; %bb.29:                               ;   in Loop: Header=BB2_27 Depth=2
	s_andn2_saveexec_b64 s[30:31], s[30:31]
	s_cbranch_execz .LBB2_34
; %bb.30:                               ;   in Loop: Header=BB2_27 Depth=2
	v_add_u32_e32 v0, -8, v6
	v_lshl_add_u64 v[8:9], v[0:1], 2, s[16:17]
	global_load_dword v5, v[8:9], off
	v_add_u32_e32 v0, v22, v3
	v_mul_lo_u32 v3, v3, 36
	v_add_u32_e32 v3, v23, v3
	ds_read2_b32 v[8:9], v3 offset1:1
	ds_write_b8 v0, v36
	v_add_u32_e32 v0, -4, v6
	s_mov_b64 s[34:35], -1
	s_and_b64 vcc, exec, s[0:1]
	v_add_u32_e32 v12, -2, v6
	v_add_u32_e32 v20, -7, v6
	;; [unrolled: 1-line block ×4, first 2 shown]
	v_lshl_add_u64 v[16:17], v[0:1], 2, s[16:17]
	v_add_u32_e32 v0, -5, v6
	v_add_u32_e32 v14, -3, v6
	s_waitcnt vmcnt(0) lgkmcnt(1)
	v_fmac_f32_e32 v8, s26, v5
	ds_write_b32 v3, v8
	s_cbranch_vccnz .LBB2_32
; %bb.31:                               ;   in Loop: Header=BB2_27 Depth=2
	v_lshl_add_u64 v[40:41], v[0:1], 2, s[16:17]
	v_mov_b32_e32 v13, v1
	v_mov_b32_e32 v21, v1
	v_mov_b32_e32 v11, v1
	v_mov_b32_e32 v19, v1
	v_mov_b32_e32 v15, v1
	v_mov_b32_e32 v7, v1
	v_lshl_add_u64 v[42:43], v[12:13], 2, s[16:17]
	v_lshl_add_u64 v[44:45], v[20:21], 2, s[16:17]
	global_load_dword v47, v[16:17], off
	v_lshl_add_u64 v[48:49], v[10:11], 2, s[16:17]
	v_lshl_add_u64 v[50:51], v[18:19], 2, s[16:17]
	;; [unrolled: 1-line block ×4, first 2 shown]
	global_load_dword v56, v[40:41], off
	global_load_dword v57, v[42:43], off
	;; [unrolled: 1-line block ×7, first 2 shown]
	ds_read_b32 v41, v3 offset:8
	ds_read2_b32 v[42:43], v3 offset0:3 offset1:4
	ds_read2_b32 v[44:45], v3 offset0:5 offset1:6
	;; [unrolled: 1-line block ×3, first 2 shown]
	v_mov_b32_e32 v40, v9
	s_mov_b64 s[34:35], 0
	s_waitcnt vmcnt(5) lgkmcnt(3)
	v_pk_fma_f32 v[40:41], s[26:27], v[56:57], v[40:41]
	s_waitcnt vmcnt(4) lgkmcnt(2)
	v_pk_fma_f32 v[42:43], s[26:27], v[46:47], v[42:43]
	;; [unrolled: 2-line block ×4, first 2 shown]
	ds_write2_b32 v3, v40, v41 offset0:1 offset1:2
	ds_write2_b32 v3, v42, v43 offset0:3 offset1:4
	ds_write2_b32 v3, v44, v45 offset0:5 offset1:6
	ds_write2_b32 v3, v46, v47 offset0:7 offset1:8
.LBB2_32:                               ;   in Loop: Header=BB2_27 Depth=2
	s_andn2_b64 vcc, exec, s[34:35]
	s_cbranch_vccnz .LBB2_34
; %bb.33:                               ;   in Loop: Header=BB2_27 Depth=2
	v_mov_b32_e32 v21, v1
	v_lshl_add_u64 v[20:21], v[20:21], 2, s[16:17]
	v_mov_b32_e32 v19, v1
	v_mov_b32_e32 v15, v1
	;; [unrolled: 1-line block ×5, first 2 shown]
	v_lshl_add_u64 v[18:19], v[18:19], 2, s[16:17]
	v_lshl_add_u64 v[40:41], v[0:1], 2, s[16:17]
	global_load_dword v17, v[16:17], off
	v_lshl_add_u64 v[14:15], v[14:15], 2, s[16:17]
	v_lshl_add_u64 v[12:13], v[12:13], 2, s[16:17]
	;; [unrolled: 1-line block ×4, first 2 shown]
	global_load_dword v44, v[20:21], off
	global_load_dword v45, v[18:19], off
	;; [unrolled: 1-line block ×7, first 2 shown]
	ds_read_b32 v11, v3 offset:8
	ds_read2_b32 v[12:13], v3 offset0:3 offset1:4
	ds_read2_b32 v[14:15], v3 offset0:5 offset1:6
	;; [unrolled: 1-line block ×3, first 2 shown]
	v_mov_b32_e32 v10, v9
	s_waitcnt vmcnt(5) lgkmcnt(3)
	v_pk_fma_f32 v[8:9], s[26:27], v[44:45], v[10:11]
	s_waitcnt vmcnt(4) lgkmcnt(2)
	v_pk_fma_f32 v[10:11], s[26:27], v[16:17], v[12:13]
	;; [unrolled: 2-line block ×4, first 2 shown]
	ds_write2_b32 v3, v8, v9 offset0:1 offset1:2
	ds_write2_b32 v3, v10, v11 offset0:3 offset1:4
	;; [unrolled: 1-line block ×4, first 2 shown]
.LBB2_34:                               ;   in Loop: Header=BB2_27 Depth=2
	s_or_b64 exec, exec, s[30:31]
	s_mov_b64 s[30:31], -1
	s_and_saveexec_b64 s[34:35], s[2:3]
	s_cbranch_execz .LBB2_26
; %bb.35:                               ;   in Loop: Header=BB2_27 Depth=2
	v_add_u32_e32 v4, 32, v4
	v_cmp_ge_i32_e32 vcc, v4, v25
	v_add_u32_e32 v6, 0x120, v6
	s_orn2_b64 s[30:31], vcc, exec
	s_branch .LBB2_26
.LBB2_36:                               ;   in Loop: Header=BB2_11 Depth=1
	s_or_b64 exec, exec, s[28:29]
.LBB2_37:                               ;   in Loop: Header=BB2_11 Depth=1
	s_or_b64 exec, exec, s[8:9]
	s_waitcnt lgkmcnt(0)
	ds_read_u8 v0, v35
	s_waitcnt lgkmcnt(0)
	v_and_b32_e32 v3, 1, v0
	v_cmp_eq_u32_e64 s[2:3], 1, v3
	v_cmp_ne_u16_e32 vcc, 0, v0
	s_and_saveexec_b64 s[8:9], s[2:3]
	s_cbranch_execz .LBB2_10
; %bb.38:                               ;   in Loop: Header=BB2_11 Depth=1
	v_and_b32_e32 v0, vcc_lo, v28
	ds_read2_b32 v[8:9], v27 offset1:4
	v_bcnt_u32_b32 v0, v0, 0
	v_add3_u32 v6, v26, v0, -1
	v_ashrrev_i32_e32 v7, 31, v6
	v_lshl_add_u32 v0, v6, 3, v6
	v_add_u32_e32 v3, v29, v37
	v_lshl_add_u64 v[10:11], v[6:7], 2, s[20:21]
	v_lshl_add_u64 v[6:7], v[0:1], 2, s[22:23]
	global_store_dword v[10:11], v3, off
	s_waitcnt lgkmcnt(0)
	global_store_dword v[6:7], v8, off
	v_add_u32_e32 v6, 1, v0
	v_add_u32_e32 v10, 2, v0
	;; [unrolled: 1-line block ×8, first 2 shown]
	v_lshl_add_u64 v[40:41], v[0:1], 2, s[22:23]
	v_add_u32_e32 v0, s11, v27
	v_add_u32_e32 v3, s33, v27
	;; [unrolled: 1-line block ×6, first 2 shown]
	ds_read_b32 v0, v0
	ds_read_b32 v3, v3
	;; [unrolled: 1-line block ×6, first 2 shown]
	ds_read_b32 v42, v27 offset:32
	v_mov_b32_e32 v7, v1
	v_lshl_add_u64 v[6:7], v[6:7], 2, s[22:23]
	v_mov_b32_e32 v11, v1
	v_mov_b32_e32 v13, v1
	;; [unrolled: 1-line block ×6, first 2 shown]
	v_lshl_add_u64 v[10:11], v[10:11], 2, s[22:23]
	v_lshl_add_u64 v[12:13], v[12:13], 2, s[22:23]
	;; [unrolled: 1-line block ×6, first 2 shown]
	s_waitcnt lgkmcnt(6)
	global_store_dword v[6:7], v0, off
	s_waitcnt lgkmcnt(5)
	global_store_dword v[10:11], v3, off
	;; [unrolled: 2-line block ×3, first 2 shown]
	global_store_dword v[14:15], v9, off
	s_waitcnt lgkmcnt(3)
	global_store_dword v[16:17], v8, off
	s_waitcnt lgkmcnt(2)
	;; [unrolled: 2-line block ×4, first 2 shown]
	global_store_dword v[40:41], v42, off
	s_branch .LBB2_10
.LBB2_39:
	s_endpgm
	.section	.rodata,"a",@progbits
	.p2align	6, 0x0
	.amdhsa_kernel _ZN9rocsparseL39bsrgeam_wf_per_row_multipass_2_3_kernelILj256ELj3ELj32EfEEv20rocsparse_direction_iiiNS_24const_host_device_scalarIT2_EEPKiS6_PKS3_S4_S6_S6_S8_S6_PiPS3_21rocsparse_index_base_SB_SB_b
		.amdhsa_group_segment_fixed_size 9472
		.amdhsa_private_segment_fixed_size 0
		.amdhsa_kernarg_size 120
		.amdhsa_user_sgpr_count 2
		.amdhsa_user_sgpr_dispatch_ptr 0
		.amdhsa_user_sgpr_queue_ptr 0
		.amdhsa_user_sgpr_kernarg_segment_ptr 1
		.amdhsa_user_sgpr_dispatch_id 0
		.amdhsa_user_sgpr_kernarg_preload_length 0
		.amdhsa_user_sgpr_kernarg_preload_offset 0
		.amdhsa_user_sgpr_private_segment_size 0
		.amdhsa_uses_dynamic_stack 0
		.amdhsa_enable_private_segment 0
		.amdhsa_system_sgpr_workgroup_id_x 1
		.amdhsa_system_sgpr_workgroup_id_y 0
		.amdhsa_system_sgpr_workgroup_id_z 0
		.amdhsa_system_sgpr_workgroup_info 0
		.amdhsa_system_vgpr_workitem_id 0
		.amdhsa_next_free_vgpr 62
		.amdhsa_next_free_sgpr 40
		.amdhsa_accum_offset 64
		.amdhsa_reserve_vcc 1
		.amdhsa_float_round_mode_32 0
		.amdhsa_float_round_mode_16_64 0
		.amdhsa_float_denorm_mode_32 3
		.amdhsa_float_denorm_mode_16_64 3
		.amdhsa_dx10_clamp 1
		.amdhsa_ieee_mode 1
		.amdhsa_fp16_overflow 0
		.amdhsa_tg_split 0
		.amdhsa_exception_fp_ieee_invalid_op 0
		.amdhsa_exception_fp_denorm_src 0
		.amdhsa_exception_fp_ieee_div_zero 0
		.amdhsa_exception_fp_ieee_overflow 0
		.amdhsa_exception_fp_ieee_underflow 0
		.amdhsa_exception_fp_ieee_inexact 0
		.amdhsa_exception_int_div_zero 0
	.end_amdhsa_kernel
	.section	.text._ZN9rocsparseL39bsrgeam_wf_per_row_multipass_2_3_kernelILj256ELj3ELj32EfEEv20rocsparse_direction_iiiNS_24const_host_device_scalarIT2_EEPKiS6_PKS3_S4_S6_S6_S8_S6_PiPS3_21rocsparse_index_base_SB_SB_b,"axG",@progbits,_ZN9rocsparseL39bsrgeam_wf_per_row_multipass_2_3_kernelILj256ELj3ELj32EfEEv20rocsparse_direction_iiiNS_24const_host_device_scalarIT2_EEPKiS6_PKS3_S4_S6_S6_S8_S6_PiPS3_21rocsparse_index_base_SB_SB_b,comdat
.Lfunc_end2:
	.size	_ZN9rocsparseL39bsrgeam_wf_per_row_multipass_2_3_kernelILj256ELj3ELj32EfEEv20rocsparse_direction_iiiNS_24const_host_device_scalarIT2_EEPKiS6_PKS3_S4_S6_S6_S8_S6_PiPS3_21rocsparse_index_base_SB_SB_b, .Lfunc_end2-_ZN9rocsparseL39bsrgeam_wf_per_row_multipass_2_3_kernelILj256ELj3ELj32EfEEv20rocsparse_direction_iiiNS_24const_host_device_scalarIT2_EEPKiS6_PKS3_S4_S6_S6_S8_S6_PiPS3_21rocsparse_index_base_SB_SB_b
                                        ; -- End function
	.set _ZN9rocsparseL39bsrgeam_wf_per_row_multipass_2_3_kernelILj256ELj3ELj32EfEEv20rocsparse_direction_iiiNS_24const_host_device_scalarIT2_EEPKiS6_PKS3_S4_S6_S6_S8_S6_PiPS3_21rocsparse_index_base_SB_SB_b.num_vgpr, 62
	.set _ZN9rocsparseL39bsrgeam_wf_per_row_multipass_2_3_kernelILj256ELj3ELj32EfEEv20rocsparse_direction_iiiNS_24const_host_device_scalarIT2_EEPKiS6_PKS3_S4_S6_S6_S8_S6_PiPS3_21rocsparse_index_base_SB_SB_b.num_agpr, 0
	.set _ZN9rocsparseL39bsrgeam_wf_per_row_multipass_2_3_kernelILj256ELj3ELj32EfEEv20rocsparse_direction_iiiNS_24const_host_device_scalarIT2_EEPKiS6_PKS3_S4_S6_S6_S8_S6_PiPS3_21rocsparse_index_base_SB_SB_b.numbered_sgpr, 40
	.set _ZN9rocsparseL39bsrgeam_wf_per_row_multipass_2_3_kernelILj256ELj3ELj32EfEEv20rocsparse_direction_iiiNS_24const_host_device_scalarIT2_EEPKiS6_PKS3_S4_S6_S6_S8_S6_PiPS3_21rocsparse_index_base_SB_SB_b.num_named_barrier, 0
	.set _ZN9rocsparseL39bsrgeam_wf_per_row_multipass_2_3_kernelILj256ELj3ELj32EfEEv20rocsparse_direction_iiiNS_24const_host_device_scalarIT2_EEPKiS6_PKS3_S4_S6_S6_S8_S6_PiPS3_21rocsparse_index_base_SB_SB_b.private_seg_size, 0
	.set _ZN9rocsparseL39bsrgeam_wf_per_row_multipass_2_3_kernelILj256ELj3ELj32EfEEv20rocsparse_direction_iiiNS_24const_host_device_scalarIT2_EEPKiS6_PKS3_S4_S6_S6_S8_S6_PiPS3_21rocsparse_index_base_SB_SB_b.uses_vcc, 1
	.set _ZN9rocsparseL39bsrgeam_wf_per_row_multipass_2_3_kernelILj256ELj3ELj32EfEEv20rocsparse_direction_iiiNS_24const_host_device_scalarIT2_EEPKiS6_PKS3_S4_S6_S6_S8_S6_PiPS3_21rocsparse_index_base_SB_SB_b.uses_flat_scratch, 0
	.set _ZN9rocsparseL39bsrgeam_wf_per_row_multipass_2_3_kernelILj256ELj3ELj32EfEEv20rocsparse_direction_iiiNS_24const_host_device_scalarIT2_EEPKiS6_PKS3_S4_S6_S6_S8_S6_PiPS3_21rocsparse_index_base_SB_SB_b.has_dyn_sized_stack, 0
	.set _ZN9rocsparseL39bsrgeam_wf_per_row_multipass_2_3_kernelILj256ELj3ELj32EfEEv20rocsparse_direction_iiiNS_24const_host_device_scalarIT2_EEPKiS6_PKS3_S4_S6_S6_S8_S6_PiPS3_21rocsparse_index_base_SB_SB_b.has_recursion, 0
	.set _ZN9rocsparseL39bsrgeam_wf_per_row_multipass_2_3_kernelILj256ELj3ELj32EfEEv20rocsparse_direction_iiiNS_24const_host_device_scalarIT2_EEPKiS6_PKS3_S4_S6_S6_S8_S6_PiPS3_21rocsparse_index_base_SB_SB_b.has_indirect_call, 0
	.section	.AMDGPU.csdata,"",@progbits
; Kernel info:
; codeLenInByte = 2720
; TotalNumSgprs: 46
; NumVgprs: 62
; NumAgprs: 0
; TotalNumVgprs: 62
; ScratchSize: 0
; MemoryBound: 0
; FloatMode: 240
; IeeeMode: 1
; LDSByteSize: 9472 bytes/workgroup (compile time only)
; SGPRBlocks: 5
; VGPRBlocks: 7
; NumSGPRsForWavesPerEU: 46
; NumVGPRsForWavesPerEU: 62
; AccumOffset: 64
; Occupancy: 8
; WaveLimiterHint : 1
; COMPUTE_PGM_RSRC2:SCRATCH_EN: 0
; COMPUTE_PGM_RSRC2:USER_SGPR: 2
; COMPUTE_PGM_RSRC2:TRAP_HANDLER: 0
; COMPUTE_PGM_RSRC2:TGID_X_EN: 1
; COMPUTE_PGM_RSRC2:TGID_Y_EN: 0
; COMPUTE_PGM_RSRC2:TGID_Z_EN: 0
; COMPUTE_PGM_RSRC2:TIDIG_COMP_CNT: 0
; COMPUTE_PGM_RSRC3_GFX90A:ACCUM_OFFSET: 15
; COMPUTE_PGM_RSRC3_GFX90A:TG_SPLIT: 0
	.section	.text._ZN9rocsparseL39bsrgeam_wf_per_row_multipass_2_3_kernelILj256ELj3ELj64EfEEv20rocsparse_direction_iiiNS_24const_host_device_scalarIT2_EEPKiS6_PKS3_S4_S6_S6_S8_S6_PiPS3_21rocsparse_index_base_SB_SB_b,"axG",@progbits,_ZN9rocsparseL39bsrgeam_wf_per_row_multipass_2_3_kernelILj256ELj3ELj64EfEEv20rocsparse_direction_iiiNS_24const_host_device_scalarIT2_EEPKiS6_PKS3_S4_S6_S6_S8_S6_PiPS3_21rocsparse_index_base_SB_SB_b,comdat
	.globl	_ZN9rocsparseL39bsrgeam_wf_per_row_multipass_2_3_kernelILj256ELj3ELj64EfEEv20rocsparse_direction_iiiNS_24const_host_device_scalarIT2_EEPKiS6_PKS3_S4_S6_S6_S8_S6_PiPS3_21rocsparse_index_base_SB_SB_b ; -- Begin function _ZN9rocsparseL39bsrgeam_wf_per_row_multipass_2_3_kernelILj256ELj3ELj64EfEEv20rocsparse_direction_iiiNS_24const_host_device_scalarIT2_EEPKiS6_PKS3_S4_S6_S6_S8_S6_PiPS3_21rocsparse_index_base_SB_SB_b
	.p2align	8
	.type	_ZN9rocsparseL39bsrgeam_wf_per_row_multipass_2_3_kernelILj256ELj3ELj64EfEEv20rocsparse_direction_iiiNS_24const_host_device_scalarIT2_EEPKiS6_PKS3_S4_S6_S6_S8_S6_PiPS3_21rocsparse_index_base_SB_SB_b,@function
_ZN9rocsparseL39bsrgeam_wf_per_row_multipass_2_3_kernelILj256ELj3ELj64EfEEv20rocsparse_direction_iiiNS_24const_host_device_scalarIT2_EEPKiS6_PKS3_S4_S6_S6_S8_S6_PiPS3_21rocsparse_index_base_SB_SB_b: ; @_ZN9rocsparseL39bsrgeam_wf_per_row_multipass_2_3_kernelILj256ELj3ELj64EfEEv20rocsparse_direction_iiiNS_24const_host_device_scalarIT2_EEPKiS6_PKS3_S4_S6_S6_S8_S6_PiPS3_21rocsparse_index_base_SB_SB_b
; %bb.0:
	s_load_dwordx4 s[4:7], s[0:1], 0x68
	s_load_dwordx2 s[24:25], s[0:1], 0x10
	s_load_dwordx2 s[26:27], s[0:1], 0x30
	s_waitcnt lgkmcnt(0)
	s_bitcmp1_b32 s7, 0
	s_cselect_b64 s[10:11], -1, 0
	s_xor_b64 s[8:9], s[10:11], -1
	s_and_b64 vcc, exec, s[10:11]
	s_cbranch_vccnz .LBB3_2
; %bb.1:
	s_load_dword s24, s[24:25], 0x0
.LBB3_2:
	s_andn2_b64 vcc, exec, s[8:9]
	s_cbranch_vccnz .LBB3_4
; %bb.3:
	s_load_dword s26, s[26:27], 0x0
.LBB3_4:
	s_nop 0
	s_load_dwordx4 s[8:11], s[0:1], 0x0
	s_lshl_b32 s2, s2, 2
	v_lshrrev_b32_e32 v1, 6, v0
	s_and_b32 s2, s2, 0x3fffffc
	v_or_b32_e32 v2, s2, v1
	s_waitcnt lgkmcnt(0)
	v_cmp_gt_i32_e32 vcc, s9, v2
	s_and_saveexec_b64 s[2:3], vcc
	s_cbranch_execz .LBB3_39
; %bb.5:
	s_load_dwordx4 s[12:15], s[0:1], 0x18
	s_load_dwordx4 s[16:19], s[0:1], 0x38
	s_load_dwordx2 s[2:3], s[0:1], 0x50
	v_lshlrev_b32_e32 v6, 2, v2
	s_waitcnt lgkmcnt(0)
	global_load_dwordx2 v[2:3], v6, s[12:13]
	global_load_dwordx2 v[4:5], v6, s[16:17]
	global_load_dword v10, v6, s[2:3]
	s_waitcnt vmcnt(2)
	v_subrev_u32_e32 v6, s4, v2
	v_cmp_lt_i32_e32 vcc, v2, v3
	v_mov_b32_e32 v2, s10
	s_and_saveexec_b64 s[2:3], vcc
	s_cbranch_execz .LBB3_7
; %bb.6:
	v_ashrrev_i32_e32 v7, 31, v6
	v_lshl_add_u64 v[8:9], v[6:7], 2, s[14:15]
	global_load_dword v2, v[8:9], off
	s_waitcnt vmcnt(0)
	v_subrev_u32_e32 v2, s4, v2
.LBB3_7:
	s_or_b64 exec, exec, s[2:3]
	s_load_dwordx4 s[20:23], s[0:1], 0x58
	s_load_dwordx2 s[12:13], s[0:1], 0x28
	s_load_dwordx2 s[16:17], s[0:1], 0x48
	s_waitcnt vmcnt(1)
	v_subrev_u32_e32 v8, s5, v4
	v_cmp_lt_i32_e32 vcc, v4, v5
	v_mov_b32_e32 v4, s10
	s_and_saveexec_b64 s[0:1], vcc
	s_cbranch_execz .LBB3_9
; %bb.8:
	v_ashrrev_i32_e32 v9, 31, v8
	v_lshl_add_u64 v[12:13], v[8:9], 2, s[18:19]
	global_load_dword v4, v[12:13], off
	s_waitcnt vmcnt(0)
	v_subrev_u32_e32 v4, s5, v4
.LBB3_9:
	s_or_b64 exec, exec, s[0:1]
	v_subrev_u32_e32 v26, s4, v3
	v_and_b32_e32 v3, 63, v0
	s_movk_i32 s0, 0x900
	v_subrev_u32_e32 v27, s5, v5
	v_mul_u32_u24_e32 v5, 36, v3
	v_mad_u32_u24 v29, v1, s0, v5
	v_mbcnt_lo_u32_b32 v5, -1, 0
	v_mbcnt_hi_u32_b32 v5, -1, v5
	v_and_b32_e32 v7, 0xc0, v0
	v_min_i32_e32 v39, v4, v2
	v_add_u32_e32 v2, v6, v3
	v_and_b32_e32 v6, 64, v5
	v_bitop3_b32 v0, v0, 63, v0 bitop3:0xc
	v_or_b32_e32 v24, 0x2400, v7
	v_add_u32_e32 v4, v8, v3
	v_add_u32_e32 v8, 64, v6
	v_lshrrev_b64 v[6:7], v0, -1
	v_xor_b32_e32 v0, 32, v5
	v_cmp_lt_i32_e32 vcc, v0, v8
	s_cmp_lg_u32 s8, 0
	s_cselect_b64 s[0:1], -1, 0
	v_cndmask_b32_e32 v0, v5, v0, vcc
	v_lshlrev_b32_e32 v31, 2, v0
	v_xor_b32_e32 v0, 16, v5
	v_cmp_lt_i32_e32 vcc, v0, v8
	s_cmp_eq_u32 s8, 0
	v_mul_u32_u24_e32 v25, 0x900, v1
	v_cndmask_b32_e32 v0, v5, v0, vcc
	v_lshlrev_b32_e32 v32, 2, v0
	v_xor_b32_e32 v0, 8, v5
	v_cmp_lt_i32_e32 vcc, v0, v8
	s_waitcnt vmcnt(0)
	v_subrev_u32_e32 v28, s6, v10
	v_mov_b32_e32 v1, 0
	v_cndmask_b32_e32 v0, v5, v0, vcc
	v_lshlrev_b32_e32 v33, 2, v0
	v_xor_b32_e32 v0, 4, v5
	v_cmp_lt_i32_e32 vcc, v0, v8
	v_add_u32_e32 v30, s6, v3
	s_cselect_b32 s11, 4, 12
	v_cndmask_b32_e32 v0, v5, v0, vcc
	v_lshlrev_b32_e32 v34, 2, v0
	v_xor_b32_e32 v0, 2, v5
	v_cmp_lt_i32_e32 vcc, v0, v8
	s_cselect_b32 s33, 8, 24
	s_cselect_b32 s36, 12, 4
	v_cndmask_b32_e32 v0, v5, v0, vcc
	v_lshlrev_b32_e32 v35, 2, v0
	v_xor_b32_e32 v0, 1, v5
	v_cmp_lt_i32_e32 vcc, v0, v8
	s_cselect_b32 s37, 20, 28
	s_cselect_b32 s38, 24, 8
	v_cndmask_b32_e32 v0, v5, v0, vcc
	v_lshlrev_b32_e32 v36, 2, v0
	v_cndmask_b32_e64 v0, 0, 1, s[0:1]
	s_cselect_b32 s39, 28, 20
	s_mov_b32 s25, s24
	s_mov_b32 s27, s26
	s_mov_b64 s[6:7], 0
	v_add_u32_e32 v37, v24, v3
	v_mov_b32_e32 v38, 1
	v_cmp_ne_u32_e64 s[0:1], 1, v0
	s_branch .LBB3_11
.LBB3_10:                               ;   in Loop: Header=BB3_11 Depth=1
	s_or_b64 exec, exec, s[8:9]
	ds_bpermute_b32 v0, v31, v40
	s_bcnt1_i32_b64 s2, vcc
	v_add_u32_e32 v28, s2, v28
	s_waitcnt lgkmcnt(0)
	v_min_i32_e32 v0, v0, v40
	ds_bpermute_b32 v3, v32, v0
	s_waitcnt lgkmcnt(0)
	v_min_i32_e32 v0, v3, v0
	ds_bpermute_b32 v3, v33, v0
	;; [unrolled: 3-line block ×5, first 2 shown]
	s_waitcnt lgkmcnt(0)
	v_min_i32_e32 v39, v3, v0
	v_cmp_le_i32_e32 vcc, s10, v39
	s_or_b64 s[6:7], vcc, s[6:7]
	s_andn2_b64 exec, exec, s[6:7]
	s_cbranch_execz .LBB3_39
.LBB3_11:                               ; =>This Loop Header: Depth=1
                                        ;     Child Loop BB3_14 Depth 2
                                        ;     Child Loop BB3_27 Depth 2
	v_cmp_lt_i32_e32 vcc, v2, v26
	v_mov_b32_e32 v40, s10
	ds_write_b8 v37, v1
	ds_write2_b32 v29, v1, v1 offset1:1
	ds_write2_b32 v29, v1, v1 offset0:2 offset1:3
	ds_write2_b32 v29, v1, v1 offset0:4 offset1:5
	;; [unrolled: 1-line block ×3, first 2 shown]
	ds_write_b32 v29, v1 offset:32
	s_waitcnt lgkmcnt(0)
	s_and_saveexec_b64 s[8:9], vcc
	s_cbranch_execz .LBB3_24
; %bb.12:                               ;   in Loop: Header=BB3_11 Depth=1
	v_mad_u64_u32 v[8:9], s[2:3], v2, 9, 8
	s_mov_b64 s[28:29], 0
	v_mov_b32_e32 v40, s10
	s_branch .LBB3_14
.LBB3_13:                               ;   in Loop: Header=BB3_14 Depth=2
	s_or_b64 exec, exec, s[34:35]
	s_and_b64 s[2:3], exec, s[30:31]
	s_or_b64 s[28:29], s[2:3], s[28:29]
	s_andn2_b64 exec, exec, s[28:29]
	s_cbranch_execz .LBB3_23
.LBB3_14:                               ;   Parent Loop BB3_11 Depth=1
                                        ; =>  This Inner Loop Header: Depth=2
	v_ashrrev_i32_e32 v3, 31, v2
	v_lshl_add_u64 v[10:11], v[2:3], 2, s[14:15]
	global_load_dword v0, v[10:11], off
	s_waitcnt vmcnt(0)
	v_subrev_u32_e32 v0, s4, v0
	v_sub_u32_e32 v3, v0, v39
	v_cmp_gt_u32_e64 s[2:3], 64, v3
	v_cmp_lt_u32_e32 vcc, 63, v3
	s_and_saveexec_b64 s[30:31], vcc
	s_xor_b64 s[30:31], exec, s[30:31]
; %bb.15:                               ;   in Loop: Header=BB3_14 Depth=2
	v_min_i32_e32 v40, v0, v40
                                        ; implicit-def: $vgpr3
; %bb.16:                               ;   in Loop: Header=BB3_14 Depth=2
	s_andn2_saveexec_b64 s[30:31], s[30:31]
	s_cbranch_execz .LBB3_21
; %bb.17:                               ;   in Loop: Header=BB3_14 Depth=2
	v_add_u32_e32 v0, -8, v8
	v_lshl_add_u64 v[10:11], v[0:1], 2, s[12:13]
	global_load_dword v5, v[10:11], off
	v_add_u32_e32 v0, v24, v3
	v_mul_lo_u32 v3, v3, 36
	ds_write_b8 v0, v38
	v_add_u32_e32 v0, -4, v8
	s_mov_b64 s[34:35], -1
	s_and_b64 vcc, exec, s[0:1]
	v_add_u32_e32 v14, -2, v8
	v_add_u32_e32 v20, -7, v8
	;; [unrolled: 1-line block ×4, first 2 shown]
	v_add_u32_e32 v3, v25, v3
	v_lshl_add_u64 v[10:11], v[0:1], 2, s[12:13]
	v_add_u32_e32 v0, -5, v8
	v_add_u32_e32 v16, -3, v8
	s_waitcnt vmcnt(0)
	v_mul_f32_e32 v5, s24, v5
	ds_write_b32 v3, v5
	s_cbranch_vccnz .LBB3_19
; %bb.18:                               ;   in Loop: Header=BB3_14 Depth=2
	v_lshl_add_u64 v[22:23], v[0:1], 2, s[12:13]
	v_mov_b32_e32 v15, v1
	v_mov_b32_e32 v21, v1
	;; [unrolled: 1-line block ×6, first 2 shown]
	v_lshl_add_u64 v[42:43], v[14:15], 2, s[12:13]
	v_lshl_add_u64 v[44:45], v[20:21], 2, s[12:13]
	v_lshl_add_u64 v[46:47], v[12:13], 2, s[12:13]
	v_lshl_add_u64 v[48:49], v[18:19], 2, s[12:13]
	v_lshl_add_u64 v[50:51], v[16:17], 2, s[12:13]
	v_lshl_add_u64 v[52:53], v[8:9], 2, s[12:13]
	global_load_dword v54, v[22:23], off
	global_load_dword v55, v[42:43], off
	;; [unrolled: 1-line block ×8, first 2 shown]
	s_mov_b64 s[34:35], 0
	s_waitcnt vmcnt(6)
	v_pk_mul_f32 v[22:23], s[24:25], v[54:55]
	s_waitcnt vmcnt(3)
	v_pk_mul_f32 v[44:45], s[24:25], v[58:59]
	s_waitcnt vmcnt(1)
	v_pk_mul_f32 v[46:47], s[24:25], v[60:61]
	s_waitcnt vmcnt(0)
	v_pk_mul_f32 v[42:43], s[24:25], v[56:57]
	ds_write2_b32 v3, v22, v23 offset0:1 offset1:2
	ds_write2_b32 v3, v42, v43 offset0:3 offset1:4
	;; [unrolled: 1-line block ×4, first 2 shown]
.LBB3_19:                               ;   in Loop: Header=BB3_14 Depth=2
	s_andn2_b64 vcc, exec, s[34:35]
	s_cbranch_vccnz .LBB3_21
; %bb.20:                               ;   in Loop: Header=BB3_14 Depth=2
	v_mov_b32_e32 v21, v1
	v_lshl_add_u64 v[20:21], v[20:21], 2, s[12:13]
	v_mov_b32_e32 v19, v1
	v_mov_b32_e32 v17, v1
	;; [unrolled: 1-line block ×5, first 2 shown]
	v_lshl_add_u64 v[18:19], v[18:19], 2, s[12:13]
	v_lshl_add_u64 v[22:23], v[0:1], 2, s[12:13]
	;; [unrolled: 1-line block ×6, first 2 shown]
	global_load_dword v44, v[20:21], off
	global_load_dword v45, v[18:19], off
	;; [unrolled: 1-line block ×8, first 2 shown]
	s_waitcnt vmcnt(6)
	v_pk_mul_f32 v[10:11], s[24:25], v[44:45]
	s_waitcnt vmcnt(3)
	v_pk_mul_f32 v[14:15], s[24:25], v[48:49]
	s_waitcnt vmcnt(1)
	v_pk_mul_f32 v[16:17], s[24:25], v[50:51]
	s_waitcnt vmcnt(0)
	v_pk_mul_f32 v[12:13], s[24:25], v[46:47]
	ds_write2_b32 v3, v10, v11 offset0:1 offset1:2
	ds_write2_b32 v3, v12, v13 offset0:3 offset1:4
	;; [unrolled: 1-line block ×4, first 2 shown]
.LBB3_21:                               ;   in Loop: Header=BB3_14 Depth=2
	s_or_b64 exec, exec, s[30:31]
	s_mov_b64 s[30:31], -1
	s_and_saveexec_b64 s[34:35], s[2:3]
	s_cbranch_execz .LBB3_13
; %bb.22:                               ;   in Loop: Header=BB3_14 Depth=2
	v_add_u32_e32 v2, 64, v2
	v_cmp_ge_i32_e32 vcc, v2, v26
	v_add_u32_e32 v8, 0x240, v8
	s_orn2_b64 s[30:31], vcc, exec
	s_branch .LBB3_13
.LBB3_23:                               ;   in Loop: Header=BB3_11 Depth=1
	s_or_b64 exec, exec, s[28:29]
.LBB3_24:                               ;   in Loop: Header=BB3_11 Depth=1
	s_or_b64 exec, exec, s[8:9]
	v_cmp_lt_i32_e32 vcc, v4, v27
	s_waitcnt lgkmcnt(0)
	s_and_saveexec_b64 s[8:9], vcc
	s_cbranch_execz .LBB3_37
; %bb.25:                               ;   in Loop: Header=BB3_11 Depth=1
	v_mad_u64_u32 v[8:9], s[2:3], v4, 9, 8
	s_mov_b64 s[28:29], 0
	s_branch .LBB3_27
.LBB3_26:                               ;   in Loop: Header=BB3_27 Depth=2
	s_or_b64 exec, exec, s[34:35]
	s_and_b64 s[2:3], exec, s[30:31]
	s_or_b64 s[28:29], s[2:3], s[28:29]
	s_andn2_b64 exec, exec, s[28:29]
	s_cbranch_execz .LBB3_36
.LBB3_27:                               ;   Parent Loop BB3_11 Depth=1
                                        ; =>  This Inner Loop Header: Depth=2
	v_ashrrev_i32_e32 v5, 31, v4
	v_lshl_add_u64 v[10:11], v[4:5], 2, s[18:19]
	global_load_dword v0, v[10:11], off
	s_waitcnt vmcnt(0)
	v_subrev_u32_e32 v0, s5, v0
	v_sub_u32_e32 v3, v0, v39
	v_cmp_gt_u32_e64 s[2:3], 64, v3
	v_cmp_lt_u32_e32 vcc, 63, v3
	s_and_saveexec_b64 s[30:31], vcc
	s_xor_b64 s[30:31], exec, s[30:31]
; %bb.28:                               ;   in Loop: Header=BB3_27 Depth=2
	v_min_i32_e32 v40, v0, v40
                                        ; implicit-def: $vgpr3
; %bb.29:                               ;   in Loop: Header=BB3_27 Depth=2
	s_andn2_saveexec_b64 s[30:31], s[30:31]
	s_cbranch_execz .LBB3_34
; %bb.30:                               ;   in Loop: Header=BB3_27 Depth=2
	v_add_u32_e32 v0, -8, v8
	v_lshl_add_u64 v[10:11], v[0:1], 2, s[16:17]
	global_load_dword v5, v[10:11], off
	v_add_u32_e32 v0, v24, v3
	v_mul_lo_u32 v3, v3, 36
	v_add_u32_e32 v3, v25, v3
	ds_read2_b32 v[10:11], v3 offset1:1
	ds_write_b8 v0, v38
	v_add_u32_e32 v0, -4, v8
	s_mov_b64 s[34:35], -1
	s_and_b64 vcc, exec, s[0:1]
	v_add_u32_e32 v14, -2, v8
	v_add_u32_e32 v22, -7, v8
	;; [unrolled: 1-line block ×4, first 2 shown]
	v_lshl_add_u64 v[18:19], v[0:1], 2, s[16:17]
	v_add_u32_e32 v0, -5, v8
	v_add_u32_e32 v16, -3, v8
	s_waitcnt vmcnt(0) lgkmcnt(1)
	v_fmac_f32_e32 v10, s26, v5
	ds_write_b32 v3, v10
	s_cbranch_vccnz .LBB3_32
; %bb.31:                               ;   in Loop: Header=BB3_27 Depth=2
	v_lshl_add_u64 v[42:43], v[0:1], 2, s[16:17]
	v_mov_b32_e32 v15, v1
	v_mov_b32_e32 v23, v1
	;; [unrolled: 1-line block ×6, first 2 shown]
	v_lshl_add_u64 v[44:45], v[14:15], 2, s[16:17]
	v_lshl_add_u64 v[46:47], v[22:23], 2, s[16:17]
	global_load_dword v49, v[18:19], off
	v_lshl_add_u64 v[50:51], v[12:13], 2, s[16:17]
	v_lshl_add_u64 v[52:53], v[20:21], 2, s[16:17]
	;; [unrolled: 1-line block ×4, first 2 shown]
	global_load_dword v58, v[42:43], off
	global_load_dword v59, v[44:45], off
	;; [unrolled: 1-line block ×7, first 2 shown]
	ds_read_b32 v43, v3 offset:8
	ds_read2_b32 v[44:45], v3 offset0:3 offset1:4
	ds_read2_b32 v[46:47], v3 offset0:5 offset1:6
	;; [unrolled: 1-line block ×3, first 2 shown]
	v_mov_b32_e32 v42, v11
	s_mov_b64 s[34:35], 0
	s_waitcnt vmcnt(5) lgkmcnt(3)
	v_pk_fma_f32 v[42:43], s[26:27], v[58:59], v[42:43]
	s_waitcnt vmcnt(4) lgkmcnt(2)
	v_pk_fma_f32 v[44:45], s[26:27], v[48:49], v[44:45]
	;; [unrolled: 2-line block ×4, first 2 shown]
	ds_write2_b32 v3, v42, v43 offset0:1 offset1:2
	ds_write2_b32 v3, v44, v45 offset0:3 offset1:4
	;; [unrolled: 1-line block ×4, first 2 shown]
.LBB3_32:                               ;   in Loop: Header=BB3_27 Depth=2
	s_andn2_b64 vcc, exec, s[34:35]
	s_cbranch_vccnz .LBB3_34
; %bb.33:                               ;   in Loop: Header=BB3_27 Depth=2
	v_mov_b32_e32 v23, v1
	v_lshl_add_u64 v[22:23], v[22:23], 2, s[16:17]
	v_mov_b32_e32 v21, v1
	v_mov_b32_e32 v17, v1
	;; [unrolled: 1-line block ×5, first 2 shown]
	v_lshl_add_u64 v[20:21], v[20:21], 2, s[16:17]
	v_lshl_add_u64 v[42:43], v[0:1], 2, s[16:17]
	global_load_dword v19, v[18:19], off
	v_lshl_add_u64 v[16:17], v[16:17], 2, s[16:17]
	v_lshl_add_u64 v[14:15], v[14:15], 2, s[16:17]
	v_lshl_add_u64 v[12:13], v[12:13], 2, s[16:17]
	v_lshl_add_u64 v[44:45], v[8:9], 2, s[16:17]
	global_load_dword v46, v[22:23], off
	global_load_dword v47, v[20:21], off
	;; [unrolled: 1-line block ×7, first 2 shown]
	ds_read_b32 v13, v3 offset:8
	ds_read2_b32 v[14:15], v3 offset0:3 offset1:4
	ds_read2_b32 v[16:17], v3 offset0:5 offset1:6
	;; [unrolled: 1-line block ×3, first 2 shown]
	v_mov_b32_e32 v12, v11
	s_waitcnt vmcnt(5) lgkmcnt(3)
	v_pk_fma_f32 v[10:11], s[26:27], v[46:47], v[12:13]
	s_waitcnt vmcnt(4) lgkmcnt(2)
	v_pk_fma_f32 v[12:13], s[26:27], v[18:19], v[14:15]
	;; [unrolled: 2-line block ×4, first 2 shown]
	ds_write2_b32 v3, v10, v11 offset0:1 offset1:2
	ds_write2_b32 v3, v12, v13 offset0:3 offset1:4
	;; [unrolled: 1-line block ×4, first 2 shown]
.LBB3_34:                               ;   in Loop: Header=BB3_27 Depth=2
	s_or_b64 exec, exec, s[30:31]
	s_mov_b64 s[30:31], -1
	s_and_saveexec_b64 s[34:35], s[2:3]
	s_cbranch_execz .LBB3_26
; %bb.35:                               ;   in Loop: Header=BB3_27 Depth=2
	v_add_u32_e32 v4, 64, v4
	v_cmp_ge_i32_e32 vcc, v4, v27
	v_add_u32_e32 v8, 0x240, v8
	s_orn2_b64 s[30:31], vcc, exec
	s_branch .LBB3_26
.LBB3_36:                               ;   in Loop: Header=BB3_11 Depth=1
	s_or_b64 exec, exec, s[28:29]
.LBB3_37:                               ;   in Loop: Header=BB3_11 Depth=1
	s_or_b64 exec, exec, s[8:9]
	s_waitcnt lgkmcnt(0)
	ds_read_u8 v0, v37
	s_waitcnt lgkmcnt(0)
	v_and_b32_e32 v3, 1, v0
	v_cmp_eq_u32_e64 s[2:3], 1, v3
	v_cmp_ne_u16_e32 vcc, 0, v0
	s_and_saveexec_b64 s[8:9], s[2:3]
	s_cbranch_execz .LBB3_10
; %bb.38:                               ;   in Loop: Header=BB3_11 Depth=1
	v_and_b32_e32 v3, vcc_lo, v6
	v_and_b32_e32 v0, vcc_hi, v7
	v_bcnt_u32_b32 v3, v3, 0
	ds_read2_b32 v[10:11], v29 offset1:4
	v_bcnt_u32_b32 v0, v0, v3
	v_add3_u32 v8, v28, v0, -1
	v_ashrrev_i32_e32 v9, 31, v8
	v_lshl_add_u32 v0, v8, 3, v8
	v_add_u32_e32 v3, v30, v39
	v_lshl_add_u64 v[12:13], v[8:9], 2, s[20:21]
	v_lshl_add_u64 v[8:9], v[0:1], 2, s[22:23]
	global_store_dword v[12:13], v3, off
	s_waitcnt lgkmcnt(0)
	global_store_dword v[8:9], v10, off
	v_add_u32_e32 v8, 1, v0
	v_add_u32_e32 v12, 2, v0
	;; [unrolled: 1-line block ×8, first 2 shown]
	v_lshl_add_u64 v[42:43], v[0:1], 2, s[22:23]
	v_add_u32_e32 v0, s11, v29
	v_add_u32_e32 v3, s33, v29
	;; [unrolled: 1-line block ×6, first 2 shown]
	ds_read_b32 v0, v0
	ds_read_b32 v3, v3
	;; [unrolled: 1-line block ×6, first 2 shown]
	ds_read_b32 v44, v29 offset:32
	v_mov_b32_e32 v9, v1
	v_lshl_add_u64 v[8:9], v[8:9], 2, s[22:23]
	v_mov_b32_e32 v13, v1
	v_mov_b32_e32 v15, v1
	;; [unrolled: 1-line block ×6, first 2 shown]
	v_lshl_add_u64 v[12:13], v[12:13], 2, s[22:23]
	v_lshl_add_u64 v[14:15], v[14:15], 2, s[22:23]
	v_lshl_add_u64 v[16:17], v[16:17], 2, s[22:23]
	v_lshl_add_u64 v[18:19], v[18:19], 2, s[22:23]
	v_lshl_add_u64 v[20:21], v[20:21], 2, s[22:23]
	v_lshl_add_u64 v[22:23], v[22:23], 2, s[22:23]
	s_waitcnt lgkmcnt(6)
	global_store_dword v[8:9], v0, off
	s_waitcnt lgkmcnt(5)
	global_store_dword v[12:13], v3, off
	s_waitcnt lgkmcnt(4)
	global_store_dword v[14:15], v5, off
	global_store_dword v[16:17], v11, off
	s_waitcnt lgkmcnt(3)
	global_store_dword v[18:19], v10, off
	s_waitcnt lgkmcnt(2)
	;; [unrolled: 2-line block ×4, first 2 shown]
	global_store_dword v[42:43], v44, off
	s_branch .LBB3_10
.LBB3_39:
	s_endpgm
	.section	.rodata,"a",@progbits
	.p2align	6, 0x0
	.amdhsa_kernel _ZN9rocsparseL39bsrgeam_wf_per_row_multipass_2_3_kernelILj256ELj3ELj64EfEEv20rocsparse_direction_iiiNS_24const_host_device_scalarIT2_EEPKiS6_PKS3_S4_S6_S6_S8_S6_PiPS3_21rocsparse_index_base_SB_SB_b
		.amdhsa_group_segment_fixed_size 9472
		.amdhsa_private_segment_fixed_size 0
		.amdhsa_kernarg_size 120
		.amdhsa_user_sgpr_count 2
		.amdhsa_user_sgpr_dispatch_ptr 0
		.amdhsa_user_sgpr_queue_ptr 0
		.amdhsa_user_sgpr_kernarg_segment_ptr 1
		.amdhsa_user_sgpr_dispatch_id 0
		.amdhsa_user_sgpr_kernarg_preload_length 0
		.amdhsa_user_sgpr_kernarg_preload_offset 0
		.amdhsa_user_sgpr_private_segment_size 0
		.amdhsa_uses_dynamic_stack 0
		.amdhsa_enable_private_segment 0
		.amdhsa_system_sgpr_workgroup_id_x 1
		.amdhsa_system_sgpr_workgroup_id_y 0
		.amdhsa_system_sgpr_workgroup_id_z 0
		.amdhsa_system_sgpr_workgroup_info 0
		.amdhsa_system_vgpr_workitem_id 0
		.amdhsa_next_free_vgpr 64
		.amdhsa_next_free_sgpr 40
		.amdhsa_accum_offset 64
		.amdhsa_reserve_vcc 1
		.amdhsa_float_round_mode_32 0
		.amdhsa_float_round_mode_16_64 0
		.amdhsa_float_denorm_mode_32 3
		.amdhsa_float_denorm_mode_16_64 3
		.amdhsa_dx10_clamp 1
		.amdhsa_ieee_mode 1
		.amdhsa_fp16_overflow 0
		.amdhsa_tg_split 0
		.amdhsa_exception_fp_ieee_invalid_op 0
		.amdhsa_exception_fp_denorm_src 0
		.amdhsa_exception_fp_ieee_div_zero 0
		.amdhsa_exception_fp_ieee_overflow 0
		.amdhsa_exception_fp_ieee_underflow 0
		.amdhsa_exception_fp_ieee_inexact 0
		.amdhsa_exception_int_div_zero 0
	.end_amdhsa_kernel
	.section	.text._ZN9rocsparseL39bsrgeam_wf_per_row_multipass_2_3_kernelILj256ELj3ELj64EfEEv20rocsparse_direction_iiiNS_24const_host_device_scalarIT2_EEPKiS6_PKS3_S4_S6_S6_S8_S6_PiPS3_21rocsparse_index_base_SB_SB_b,"axG",@progbits,_ZN9rocsparseL39bsrgeam_wf_per_row_multipass_2_3_kernelILj256ELj3ELj64EfEEv20rocsparse_direction_iiiNS_24const_host_device_scalarIT2_EEPKiS6_PKS3_S4_S6_S6_S8_S6_PiPS3_21rocsparse_index_base_SB_SB_b,comdat
.Lfunc_end3:
	.size	_ZN9rocsparseL39bsrgeam_wf_per_row_multipass_2_3_kernelILj256ELj3ELj64EfEEv20rocsparse_direction_iiiNS_24const_host_device_scalarIT2_EEPKiS6_PKS3_S4_S6_S6_S8_S6_PiPS3_21rocsparse_index_base_SB_SB_b, .Lfunc_end3-_ZN9rocsparseL39bsrgeam_wf_per_row_multipass_2_3_kernelILj256ELj3ELj64EfEEv20rocsparse_direction_iiiNS_24const_host_device_scalarIT2_EEPKiS6_PKS3_S4_S6_S6_S8_S6_PiPS3_21rocsparse_index_base_SB_SB_b
                                        ; -- End function
	.set _ZN9rocsparseL39bsrgeam_wf_per_row_multipass_2_3_kernelILj256ELj3ELj64EfEEv20rocsparse_direction_iiiNS_24const_host_device_scalarIT2_EEPKiS6_PKS3_S4_S6_S6_S8_S6_PiPS3_21rocsparse_index_base_SB_SB_b.num_vgpr, 64
	.set _ZN9rocsparseL39bsrgeam_wf_per_row_multipass_2_3_kernelILj256ELj3ELj64EfEEv20rocsparse_direction_iiiNS_24const_host_device_scalarIT2_EEPKiS6_PKS3_S4_S6_S6_S8_S6_PiPS3_21rocsparse_index_base_SB_SB_b.num_agpr, 0
	.set _ZN9rocsparseL39bsrgeam_wf_per_row_multipass_2_3_kernelILj256ELj3ELj64EfEEv20rocsparse_direction_iiiNS_24const_host_device_scalarIT2_EEPKiS6_PKS3_S4_S6_S6_S8_S6_PiPS3_21rocsparse_index_base_SB_SB_b.numbered_sgpr, 40
	.set _ZN9rocsparseL39bsrgeam_wf_per_row_multipass_2_3_kernelILj256ELj3ELj64EfEEv20rocsparse_direction_iiiNS_24const_host_device_scalarIT2_EEPKiS6_PKS3_S4_S6_S6_S8_S6_PiPS3_21rocsparse_index_base_SB_SB_b.num_named_barrier, 0
	.set _ZN9rocsparseL39bsrgeam_wf_per_row_multipass_2_3_kernelILj256ELj3ELj64EfEEv20rocsparse_direction_iiiNS_24const_host_device_scalarIT2_EEPKiS6_PKS3_S4_S6_S6_S8_S6_PiPS3_21rocsparse_index_base_SB_SB_b.private_seg_size, 0
	.set _ZN9rocsparseL39bsrgeam_wf_per_row_multipass_2_3_kernelILj256ELj3ELj64EfEEv20rocsparse_direction_iiiNS_24const_host_device_scalarIT2_EEPKiS6_PKS3_S4_S6_S6_S8_S6_PiPS3_21rocsparse_index_base_SB_SB_b.uses_vcc, 1
	.set _ZN9rocsparseL39bsrgeam_wf_per_row_multipass_2_3_kernelILj256ELj3ELj64EfEEv20rocsparse_direction_iiiNS_24const_host_device_scalarIT2_EEPKiS6_PKS3_S4_S6_S6_S8_S6_PiPS3_21rocsparse_index_base_SB_SB_b.uses_flat_scratch, 0
	.set _ZN9rocsparseL39bsrgeam_wf_per_row_multipass_2_3_kernelILj256ELj3ELj64EfEEv20rocsparse_direction_iiiNS_24const_host_device_scalarIT2_EEPKiS6_PKS3_S4_S6_S6_S8_S6_PiPS3_21rocsparse_index_base_SB_SB_b.has_dyn_sized_stack, 0
	.set _ZN9rocsparseL39bsrgeam_wf_per_row_multipass_2_3_kernelILj256ELj3ELj64EfEEv20rocsparse_direction_iiiNS_24const_host_device_scalarIT2_EEPKiS6_PKS3_S4_S6_S6_S8_S6_PiPS3_21rocsparse_index_base_SB_SB_b.has_recursion, 0
	.set _ZN9rocsparseL39bsrgeam_wf_per_row_multipass_2_3_kernelILj256ELj3ELj64EfEEv20rocsparse_direction_iiiNS_24const_host_device_scalarIT2_EEPKiS6_PKS3_S4_S6_S6_S8_S6_PiPS3_21rocsparse_index_base_SB_SB_b.has_indirect_call, 0
	.section	.AMDGPU.csdata,"",@progbits
; Kernel info:
; codeLenInByte = 2764
; TotalNumSgprs: 46
; NumVgprs: 64
; NumAgprs: 0
; TotalNumVgprs: 64
; ScratchSize: 0
; MemoryBound: 0
; FloatMode: 240
; IeeeMode: 1
; LDSByteSize: 9472 bytes/workgroup (compile time only)
; SGPRBlocks: 5
; VGPRBlocks: 7
; NumSGPRsForWavesPerEU: 46
; NumVGPRsForWavesPerEU: 64
; AccumOffset: 64
; Occupancy: 8
; WaveLimiterHint : 1
; COMPUTE_PGM_RSRC2:SCRATCH_EN: 0
; COMPUTE_PGM_RSRC2:USER_SGPR: 2
; COMPUTE_PGM_RSRC2:TRAP_HANDLER: 0
; COMPUTE_PGM_RSRC2:TGID_X_EN: 1
; COMPUTE_PGM_RSRC2:TGID_Y_EN: 0
; COMPUTE_PGM_RSRC2:TGID_Z_EN: 0
; COMPUTE_PGM_RSRC2:TIDIG_COMP_CNT: 0
; COMPUTE_PGM_RSRC3_GFX90A:ACCUM_OFFSET: 15
; COMPUTE_PGM_RSRC3_GFX90A:TG_SPLIT: 0
	.section	.text._ZN9rocsparseL35bsrgeam_wf_per_row_multipass_kernelILj64ELj4EfEEv20rocsparse_direction_iiiNS_24const_host_device_scalarIT1_EEPKiS6_PKS3_S4_S6_S6_S8_S6_PiPS3_21rocsparse_index_base_SB_SB_b,"axG",@progbits,_ZN9rocsparseL35bsrgeam_wf_per_row_multipass_kernelILj64ELj4EfEEv20rocsparse_direction_iiiNS_24const_host_device_scalarIT1_EEPKiS6_PKS3_S4_S6_S6_S8_S6_PiPS3_21rocsparse_index_base_SB_SB_b,comdat
	.globl	_ZN9rocsparseL35bsrgeam_wf_per_row_multipass_kernelILj64ELj4EfEEv20rocsparse_direction_iiiNS_24const_host_device_scalarIT1_EEPKiS6_PKS3_S4_S6_S6_S8_S6_PiPS3_21rocsparse_index_base_SB_SB_b ; -- Begin function _ZN9rocsparseL35bsrgeam_wf_per_row_multipass_kernelILj64ELj4EfEEv20rocsparse_direction_iiiNS_24const_host_device_scalarIT1_EEPKiS6_PKS3_S4_S6_S6_S8_S6_PiPS3_21rocsparse_index_base_SB_SB_b
	.p2align	8
	.type	_ZN9rocsparseL35bsrgeam_wf_per_row_multipass_kernelILj64ELj4EfEEv20rocsparse_direction_iiiNS_24const_host_device_scalarIT1_EEPKiS6_PKS3_S4_S6_S6_S8_S6_PiPS3_21rocsparse_index_base_SB_SB_b,@function
_ZN9rocsparseL35bsrgeam_wf_per_row_multipass_kernelILj64ELj4EfEEv20rocsparse_direction_iiiNS_24const_host_device_scalarIT1_EEPKiS6_PKS3_S4_S6_S6_S8_S6_PiPS3_21rocsparse_index_base_SB_SB_b: ; @_ZN9rocsparseL35bsrgeam_wf_per_row_multipass_kernelILj64ELj4EfEEv20rocsparse_direction_iiiNS_24const_host_device_scalarIT1_EEPKiS6_PKS3_S4_S6_S6_S8_S6_PiPS3_21rocsparse_index_base_SB_SB_b
; %bb.0:
	s_load_dwordx4 s[8:11], s[0:1], 0x68
	s_load_dwordx2 s[20:21], s[0:1], 0x10
	s_load_dwordx2 s[22:23], s[0:1], 0x30
	s_waitcnt lgkmcnt(0)
	s_bitcmp1_b32 s11, 0
	s_cselect_b64 s[4:5], -1, 0
	s_xor_b64 s[6:7], s[4:5], -1
	s_and_b64 vcc, exec, s[4:5]
	s_cbranch_vccnz .LBB4_2
; %bb.1:
	s_load_dword s20, s[20:21], 0x0
.LBB4_2:
	s_nop 0
	s_load_dwordx2 s[4:5], s[0:1], 0x18
	s_andn2_b64 vcc, exec, s[6:7]
	s_cbranch_vccnz .LBB4_4
; %bb.3:
	s_load_dword s22, s[22:23], 0x0
.LBB4_4:
	s_nop 0
	s_load_dwordx4 s[12:15], s[0:1], 0x0
	v_lshrrev_b32_e32 v12, 4, v0
	v_lshl_or_b32 v8, s2, 2, v12
	v_mov_b32_e32 v1, 0
	v_ashrrev_i32_e32 v9, 31, v8
	s_waitcnt lgkmcnt(0)
	v_cmp_le_i32_e32 vcc, s13, v8
	v_cmp_gt_i32_e64 s[2:3], s13, v8
	v_mov_b32_e32 v2, 0
	s_and_saveexec_b64 s[6:7], s[2:3]
	s_cbranch_execz .LBB4_6
; %bb.5:
	v_lshl_add_u64 v[2:3], v[8:9], 2, s[4:5]
	global_load_dword v2, v[2:3], off
	s_waitcnt vmcnt(0)
	v_subrev_u32_e32 v2, s8, v2
.LBB4_6:
	s_or_b64 exec, exec, s[6:7]
	s_load_dwordx2 s[6:7], s[0:1], 0x38
	s_and_saveexec_b64 s[16:17], s[2:3]
	s_cbranch_execz .LBB4_8
; %bb.7:
	v_lshl_add_u64 v[4:5], v[8:9], 2, s[4:5]
	global_load_dword v1, v[4:5], off offset:4
	s_waitcnt vmcnt(0)
	v_subrev_u32_e32 v1, s8, v1
.LBB4_8:
	s_or_b64 exec, exec, s[16:17]
	v_mov_b32_e32 v11, 0
	v_mov_b32_e32 v4, 0
	s_and_saveexec_b64 s[4:5], s[2:3]
	s_cbranch_execz .LBB4_10
; %bb.9:
	s_waitcnt lgkmcnt(0)
	v_lshl_add_u64 v[4:5], v[8:9], 2, s[6:7]
	global_load_dword v3, v[4:5], off
	s_waitcnt vmcnt(0)
	v_subrev_u32_e32 v4, s9, v3
.LBB4_10:
	s_or_b64 exec, exec, s[4:5]
	s_and_saveexec_b64 s[4:5], s[2:3]
	s_cbranch_execz .LBB4_12
; %bb.11:
	s_waitcnt lgkmcnt(0)
	v_lshl_add_u64 v[6:7], v[8:9], 2, s[6:7]
	global_load_dword v3, v[6:7], off offset:4
	s_waitcnt vmcnt(0)
	v_subrev_u32_e32 v11, s9, v3
.LBB4_12:
	s_or_b64 exec, exec, s[4:5]
	s_load_dwordx2 s[24:25], s[0:1], 0x20
	v_mov_b32_e32 v6, 0
	s_and_saveexec_b64 s[4:5], s[2:3]
	s_cbranch_execz .LBB4_14
; %bb.13:
	s_load_dwordx2 s[2:3], s[0:1], 0x50
	s_waitcnt lgkmcnt(0)
	v_lshl_add_u64 v[6:7], v[8:9], 2, s[2:3]
	global_load_dword v3, v[6:7], off
	s_waitcnt vmcnt(0)
	v_subrev_u32_e32 v6, s10, v3
.LBB4_14:
	s_or_b64 exec, exec, s[4:5]
	s_load_dwordx2 s[26:27], s[0:1], 0x40
	v_cmp_lt_i32_e64 s[2:3], v2, v1
	v_mov_b32_e32 v3, s14
	s_and_saveexec_b64 s[4:5], s[2:3]
	s_cbranch_execz .LBB4_16
; %bb.15:
	v_ashrrev_i32_e32 v3, 31, v2
	s_waitcnt lgkmcnt(0)
	v_lshl_add_u64 v[8:9], v[2:3], 2, s[24:25]
	global_load_dword v3, v[8:9], off
	s_waitcnt vmcnt(0)
	v_subrev_u32_e32 v3, s8, v3
.LBB4_16:
	s_or_b64 exec, exec, s[4:5]
	v_cmp_lt_i32_e64 s[2:3], v4, v11
	v_mov_b32_e32 v5, s14
	s_and_saveexec_b64 s[4:5], s[2:3]
	s_cbranch_execz .LBB4_18
; %bb.17:
	v_ashrrev_i32_e32 v5, 31, v4
	s_waitcnt lgkmcnt(0)
	v_lshl_add_u64 v[8:9], v[4:5], 2, s[26:27]
	global_load_dword v5, v[8:9], off
	s_waitcnt vmcnt(0)
	v_subrev_u32_e32 v5, s9, v5
.LBB4_18:
	s_or_b64 exec, exec, s[4:5]
	v_cndmask_b32_e64 v8, 0, 1, vcc
	v_lshlrev_b32_e32 v7, 2, v12
	v_mov_b32_e32 v9, 0
	ds_write_b32 v7, v8 offset:256
	s_waitcnt lgkmcnt(0)
	; wave barrier
	ds_read_b32 v8, v9 offset:256
	s_waitcnt lgkmcnt(0)
	v_cmp_lt_u32_e32 vcc, 3, v8
	s_cbranch_vccnz .LBB4_58
; %bb.19:
	v_or_b32_e32 v13, 0x100, v7
	v_and_b32_e32 v8, 3, v0
	v_bfe_u32 v10, v0, 2, 2
	v_min_i32_e32 v7, v5, v3
	v_mov_b32_e32 v3, 0x110
	s_load_dwordx4 s[16:19], s[0:1], 0x58
	s_load_dwordx2 s[28:29], s[0:1], 0x28
	s_load_dwordx2 s[30:31], s[0:1], 0x48
	v_lshl_or_b32 v20, v12, 2, v3
	v_max_i32_e32 v3, v10, v8
	v_cmp_gt_i32_e64 s[0:1], s15, v3
	v_and_b32_e32 v3, 48, v0
	s_cmp_lg_u32 s12, 0
	v_lshlrev_b32_e32 v3, 2, v3
	v_lshlrev_b32_e32 v5, 4, v10
	;; [unrolled: 1-line block ×3, first 2 shown]
	s_cselect_b64 s[34:35], -1, 0
	s_cmp_eq_u32 s12, 0
	v_or3_b32 v22, v3, v5, v12
	v_lshlrev_b32_e32 v5, 4, v8
	v_lshlrev_b32_e32 v12, 2, v10
	;; [unrolled: 1-line block ×3, first 2 shown]
	v_or3_b32 v23, v3, v5, v12
	s_cselect_b64 vcc, -1, 0
	v_cmp_gt_u32_e64 s[2:3], 2, v0
	v_or_b32_e32 v24, 0x100, v21
	v_cmp_eq_u32_e64 s[4:5], 0, v0
	v_cndmask_b32_e32 v0, v10, v8, vcc
	v_cndmask_b32_e32 v12, v8, v10, vcc
	;; [unrolled: 1-line block ×3, first 2 shown]
	s_mul_i32 s11, s15, s15
	v_mov_b32_e32 v26, 1
	s_branch .LBB4_21
.LBB4_20:                               ;   in Loop: Header=BB4_21 Depth=1
	s_or_b64 exec, exec, s[6:7]
	s_waitcnt lgkmcnt(0)
	; wave barrier
	ds_read_b32 v5, v9 offset:256
	v_add_u32_e32 v6, 1, v6
	v_mov_b32_e32 v7, v3
	s_waitcnt lgkmcnt(0)
	v_cmp_gt_u32_e32 vcc, 4, v5
	s_cbranch_vccz .LBB4_58
.LBB4_21:                               ; =>This Loop Header: Depth=1
                                        ;     Child Loop BB4_24 Depth 2
                                        ;     Child Loop BB4_39 Depth 2
	v_cmp_lt_i32_e32 vcc, v2, v1
	v_mov_b32_e32 v3, s14
	ds_write_b32 v20, v9
	ds_write_b32 v21, v9
	s_waitcnt lgkmcnt(0)
	; wave barrier
	s_and_saveexec_b64 s[12:13], vcc
	s_cbranch_execz .LBB4_36
; %bb.22:                               ;   in Loop: Header=BB4_21 Depth=1
	v_mul_lo_u32 v3, s15, v2
	v_add_u32_e32 v5, v8, v3
	v_add_u32_e32 v3, v10, v3
	v_mad_u64_u32 v[16:17], s[6:7], s15, v3, v[8:9]
	v_ashrrev_i32_e32 v3, 31, v2
	v_mad_u64_u32 v[14:15], s[6:7], s15, v5, v[10:11]
	v_lshl_add_u64 v[18:19], v[2:3], 2, s[24:25]
	s_mov_b64 s[36:37], 0
	v_mov_b32_e32 v5, 0
	v_mov_b32_e32 v3, s14
	s_branch .LBB4_24
.LBB4_23:                               ;   in Loop: Header=BB4_24 Depth=2
	s_or_b64 exec, exec, s[40:41]
	s_and_b64 s[6:7], exec, s[38:39]
	v_mov_b32_e32 v17, v2
	s_or_b64 s[36:37], s[6:7], s[36:37]
	v_mov_b32_e32 v2, v15
	s_andn2_b64 exec, exec, s[36:37]
	s_cbranch_execz .LBB4_35
.LBB4_24:                               ;   Parent Loop BB4_21 Depth=1
                                        ; =>  This Inner Loop Header: Depth=2
	global_load_dword v15, v[18:19], off
	s_waitcnt vmcnt(0)
	v_subrev_u32_e32 v15, s8, v15
	v_cmp_le_i32_e64 s[6:7], v15, v7
	s_and_saveexec_b64 s[38:39], s[6:7]
	s_xor_b64 s[38:39], exec, s[38:39]
	s_cbranch_execz .LBB4_31
; %bb.25:                               ;   in Loop: Header=BB4_24 Depth=2
	ds_write_b32 v20, v26
	s_and_saveexec_b64 s[40:41], s[0:1]
	s_cbranch_execz .LBB4_30
; %bb.26:                               ;   in Loop: Header=BB4_24 Depth=2
	s_mov_b64 s[42:43], -1
	s_and_b64 vcc, exec, s[34:35]
	s_cbranch_vccz .LBB4_28
; %bb.27:                               ;   in Loop: Header=BB4_24 Depth=2
	v_add_u32_e32 v28, v16, v5
	v_ashrrev_i32_e32 v29, 31, v28
	v_lshl_add_u64 v[28:29], v[28:29], 2, s[28:29]
	global_load_dword v15, v[28:29], off
	s_mov_b64 s[42:43], 0
	s_waitcnt vmcnt(0)
	v_mul_f32_e32 v15, s20, v15
	ds_write_b32 v22, v15
.LBB4_28:                               ;   in Loop: Header=BB4_24 Depth=2
	s_andn2_b64 vcc, exec, s[42:43]
	s_cbranch_vccnz .LBB4_30
; %bb.29:                               ;   in Loop: Header=BB4_24 Depth=2
	v_add_u32_e32 v28, v14, v5
	v_ashrrev_i32_e32 v29, 31, v28
	v_lshl_add_u64 v[28:29], v[28:29], 2, s[28:29]
	global_load_dword v15, v[28:29], off
	s_waitcnt vmcnt(0)
	v_mul_f32_e32 v15, s20, v15
	ds_write_b32 v23, v15
.LBB4_30:                               ;   in Loop: Header=BB4_24 Depth=2
	s_or_b64 exec, exec, s[40:41]
                                        ; implicit-def: $vgpr15
	s_andn2_saveexec_b64 s[38:39], s[38:39]
	s_branch .LBB4_32
.LBB4_31:                               ;   in Loop: Header=BB4_24 Depth=2
	s_andn2_saveexec_b64 s[38:39], s[38:39]
.LBB4_32:                               ;   in Loop: Header=BB4_24 Depth=2
	v_min_i32_e32 v3, v15, v3
; %bb.33:                               ;   in Loop: Header=BB4_24 Depth=2
	s_or_b64 exec, exec, s[38:39]
	s_mov_b64 s[38:39], -1
                                        ; implicit-def: $vgpr15
	s_and_saveexec_b64 s[40:41], s[6:7]
	s_cbranch_execz .LBB4_23
; %bb.34:                               ;   in Loop: Header=BB4_24 Depth=2
	v_add_u32_e32 v15, 1, v2
	v_cmp_ge_i32_e32 vcc, v15, v1
	v_add_u32_e32 v5, s11, v5
	v_lshl_add_u64 v[18:19], v[18:19], 0, 4
	s_orn2_b64 s[38:39], vcc, exec
	v_mov_b32_e32 v2, v1
	s_branch .LBB4_23
.LBB4_35:                               ;   in Loop: Header=BB4_21 Depth=1
	s_or_b64 exec, exec, s[36:37]
	v_mov_b32_e32 v2, v17
.LBB4_36:                               ;   in Loop: Header=BB4_21 Depth=1
	s_or_b64 exec, exec, s[12:13]
	v_cmp_lt_i32_e32 vcc, v4, v11
	s_waitcnt lgkmcnt(0)
	; wave barrier
	s_and_saveexec_b64 s[12:13], vcc
	s_cbranch_execz .LBB4_51
; %bb.37:                               ;   in Loop: Header=BB4_21 Depth=1
	v_mul_lo_u32 v5, s15, v4
	v_add_u32_e32 v14, v8, v5
	v_add_u32_e32 v5, v10, v5
	v_mad_u64_u32 v[16:17], s[6:7], s15, v5, v[8:9]
	v_ashrrev_i32_e32 v5, 31, v4
	v_mad_u64_u32 v[14:15], s[6:7], s15, v14, v[10:11]
	v_lshl_add_u64 v[18:19], v[4:5], 2, s[26:27]
	s_mov_b64 s[36:37], 0
	v_mov_b32_e32 v5, 0
	s_branch .LBB4_39
.LBB4_38:                               ;   in Loop: Header=BB4_39 Depth=2
	s_or_b64 exec, exec, s[40:41]
	s_and_b64 s[6:7], exec, s[38:39]
	v_mov_b32_e32 v17, v4
	s_or_b64 s[36:37], s[6:7], s[36:37]
	v_mov_b32_e32 v4, v15
	s_andn2_b64 exec, exec, s[36:37]
	s_cbranch_execz .LBB4_50
.LBB4_39:                               ;   Parent Loop BB4_21 Depth=1
                                        ; =>  This Inner Loop Header: Depth=2
	global_load_dword v15, v[18:19], off
	s_waitcnt vmcnt(0)
	v_subrev_u32_e32 v15, s9, v15
	v_cmp_le_i32_e64 s[6:7], v15, v7
	s_and_saveexec_b64 s[38:39], s[6:7]
	s_xor_b64 s[38:39], exec, s[38:39]
	s_cbranch_execz .LBB4_46
; %bb.40:                               ;   in Loop: Header=BB4_39 Depth=2
	ds_write_b32 v20, v26
	s_and_saveexec_b64 s[40:41], s[0:1]
	s_cbranch_execz .LBB4_45
; %bb.41:                               ;   in Loop: Header=BB4_39 Depth=2
	s_mov_b64 s[42:43], -1
	s_and_b64 vcc, exec, s[34:35]
	s_cbranch_vccz .LBB4_43
; %bb.42:                               ;   in Loop: Header=BB4_39 Depth=2
	v_add_u32_e32 v28, v16, v5
	v_ashrrev_i32_e32 v29, 31, v28
	v_lshl_add_u64 v[28:29], v[28:29], 2, s[30:31]
	global_load_dword v15, v[28:29], off
	ds_read_b32 v17, v22
	s_mov_b64 s[42:43], 0
	s_waitcnt vmcnt(0) lgkmcnt(0)
	v_fmac_f32_e32 v17, s22, v15
	ds_write_b32 v22, v17
.LBB4_43:                               ;   in Loop: Header=BB4_39 Depth=2
	s_andn2_b64 vcc, exec, s[42:43]
	s_cbranch_vccnz .LBB4_45
; %bb.44:                               ;   in Loop: Header=BB4_39 Depth=2
	v_add_u32_e32 v28, v14, v5
	v_ashrrev_i32_e32 v29, 31, v28
	v_lshl_add_u64 v[28:29], v[28:29], 2, s[30:31]
	global_load_dword v15, v[28:29], off
	ds_read_b32 v17, v23
	s_waitcnt vmcnt(0) lgkmcnt(0)
	v_fmac_f32_e32 v17, s22, v15
	ds_write_b32 v23, v17
.LBB4_45:                               ;   in Loop: Header=BB4_39 Depth=2
	s_or_b64 exec, exec, s[40:41]
                                        ; implicit-def: $vgpr15
	s_andn2_saveexec_b64 s[38:39], s[38:39]
	s_branch .LBB4_47
.LBB4_46:                               ;   in Loop: Header=BB4_39 Depth=2
	s_andn2_saveexec_b64 s[38:39], s[38:39]
.LBB4_47:                               ;   in Loop: Header=BB4_39 Depth=2
	v_min_i32_e32 v3, v15, v3
; %bb.48:                               ;   in Loop: Header=BB4_39 Depth=2
	s_or_b64 exec, exec, s[38:39]
	s_mov_b64 s[38:39], -1
                                        ; implicit-def: $vgpr15
	s_and_saveexec_b64 s[40:41], s[6:7]
	s_cbranch_execz .LBB4_38
; %bb.49:                               ;   in Loop: Header=BB4_39 Depth=2
	v_add_u32_e32 v15, 1, v4
	v_cmp_ge_i32_e32 vcc, v15, v11
	v_add_u32_e32 v5, s11, v5
	v_lshl_add_u64 v[18:19], v[18:19], 0, 4
	s_orn2_b64 s[38:39], vcc, exec
	v_mov_b32_e32 v4, v11
	s_branch .LBB4_38
.LBB4_50:                               ;   in Loop: Header=BB4_21 Depth=1
	s_or_b64 exec, exec, s[36:37]
	v_mov_b32_e32 v4, v17
.LBB4_51:                               ;   in Loop: Header=BB4_21 Depth=1
	s_or_b64 exec, exec, s[12:13]
	s_waitcnt lgkmcnt(0)
	; wave barrier
	ds_read_b32 v5, v20
	s_waitcnt lgkmcnt(0)
	v_cmp_ne_u32_e32 vcc, 0, v5
	s_and_saveexec_b64 s[6:7], vcc
	s_cbranch_execz .LBB4_54
; %bb.52:                               ;   in Loop: Header=BB4_21 Depth=1
	v_add_u32_e32 v5, s10, v7
	v_ashrrev_i32_e32 v7, 31, v6
	v_lshl_add_u64 v[14:15], v[6:7], 2, s[16:17]
	global_store_dword v[14:15], v5, off
	s_and_b64 exec, exec, s[0:1]
	s_cbranch_execz .LBB4_54
; %bb.53:                               ;   in Loop: Header=BB4_21 Depth=1
	ds_read_b32 v5, v25
	v_mad_u64_u32 v[14:15], s[12:13], v6, s15, v[0:1]
	v_mad_u64_u32 v[14:15], s[12:13], v14, s15, v[12:13]
	v_ashrrev_i32_e32 v15, 31, v14
	v_lshl_add_u64 v[14:15], v[14:15], 2, s[18:19]
	s_waitcnt lgkmcnt(0)
	global_store_dword v[14:15], v5, off
.LBB4_54:                               ;   in Loop: Header=BB4_21 Depth=1
	s_or_b64 exec, exec, s[6:7]
	v_cmp_le_i32_e32 vcc, s14, v3
	; wave barrier
	s_nop 1
	v_cndmask_b32_e64 v5, 0, 1, vcc
	; wave barrier
	ds_write_b32 v13, v5
	s_waitcnt lgkmcnt(0)
	; wave barrier
	s_and_saveexec_b64 s[6:7], s[2:3]
	s_cbranch_execz .LBB4_56
; %bb.55:                               ;   in Loop: Header=BB4_21 Depth=1
	ds_read2_b32 v[14:15], v24 offset1:2
	s_waitcnt lgkmcnt(0)
	v_add_u32_e32 v5, v15, v14
	ds_write_b32 v24, v5
.LBB4_56:                               ;   in Loop: Header=BB4_21 Depth=1
	s_or_b64 exec, exec, s[6:7]
	s_waitcnt lgkmcnt(0)
	; wave barrier
	s_and_saveexec_b64 s[6:7], s[4:5]
	s_cbranch_execz .LBB4_20
; %bb.57:                               ;   in Loop: Header=BB4_21 Depth=1
	ds_read_b64 v[14:15], v9 offset:256
	s_waitcnt lgkmcnt(0)
	v_add_u32_e32 v5, v15, v14
	ds_write_b32 v9, v5 offset:256
	s_branch .LBB4_20
.LBB4_58:
	s_endpgm
	.section	.rodata,"a",@progbits
	.p2align	6, 0x0
	.amdhsa_kernel _ZN9rocsparseL35bsrgeam_wf_per_row_multipass_kernelILj64ELj4EfEEv20rocsparse_direction_iiiNS_24const_host_device_scalarIT1_EEPKiS6_PKS3_S4_S6_S6_S8_S6_PiPS3_21rocsparse_index_base_SB_SB_b
		.amdhsa_group_segment_fixed_size 288
		.amdhsa_private_segment_fixed_size 0
		.amdhsa_kernarg_size 120
		.amdhsa_user_sgpr_count 2
		.amdhsa_user_sgpr_dispatch_ptr 0
		.amdhsa_user_sgpr_queue_ptr 0
		.amdhsa_user_sgpr_kernarg_segment_ptr 1
		.amdhsa_user_sgpr_dispatch_id 0
		.amdhsa_user_sgpr_kernarg_preload_length 0
		.amdhsa_user_sgpr_kernarg_preload_offset 0
		.amdhsa_user_sgpr_private_segment_size 0
		.amdhsa_uses_dynamic_stack 0
		.amdhsa_enable_private_segment 0
		.amdhsa_system_sgpr_workgroup_id_x 1
		.amdhsa_system_sgpr_workgroup_id_y 0
		.amdhsa_system_sgpr_workgroup_id_z 0
		.amdhsa_system_sgpr_workgroup_info 0
		.amdhsa_system_vgpr_workitem_id 0
		.amdhsa_next_free_vgpr 30
		.amdhsa_next_free_sgpr 44
		.amdhsa_accum_offset 32
		.amdhsa_reserve_vcc 1
		.amdhsa_float_round_mode_32 0
		.amdhsa_float_round_mode_16_64 0
		.amdhsa_float_denorm_mode_32 3
		.amdhsa_float_denorm_mode_16_64 3
		.amdhsa_dx10_clamp 1
		.amdhsa_ieee_mode 1
		.amdhsa_fp16_overflow 0
		.amdhsa_tg_split 0
		.amdhsa_exception_fp_ieee_invalid_op 0
		.amdhsa_exception_fp_denorm_src 0
		.amdhsa_exception_fp_ieee_div_zero 0
		.amdhsa_exception_fp_ieee_overflow 0
		.amdhsa_exception_fp_ieee_underflow 0
		.amdhsa_exception_fp_ieee_inexact 0
		.amdhsa_exception_int_div_zero 0
	.end_amdhsa_kernel
	.section	.text._ZN9rocsparseL35bsrgeam_wf_per_row_multipass_kernelILj64ELj4EfEEv20rocsparse_direction_iiiNS_24const_host_device_scalarIT1_EEPKiS6_PKS3_S4_S6_S6_S8_S6_PiPS3_21rocsparse_index_base_SB_SB_b,"axG",@progbits,_ZN9rocsparseL35bsrgeam_wf_per_row_multipass_kernelILj64ELj4EfEEv20rocsparse_direction_iiiNS_24const_host_device_scalarIT1_EEPKiS6_PKS3_S4_S6_S6_S8_S6_PiPS3_21rocsparse_index_base_SB_SB_b,comdat
.Lfunc_end4:
	.size	_ZN9rocsparseL35bsrgeam_wf_per_row_multipass_kernelILj64ELj4EfEEv20rocsparse_direction_iiiNS_24const_host_device_scalarIT1_EEPKiS6_PKS3_S4_S6_S6_S8_S6_PiPS3_21rocsparse_index_base_SB_SB_b, .Lfunc_end4-_ZN9rocsparseL35bsrgeam_wf_per_row_multipass_kernelILj64ELj4EfEEv20rocsparse_direction_iiiNS_24const_host_device_scalarIT1_EEPKiS6_PKS3_S4_S6_S6_S8_S6_PiPS3_21rocsparse_index_base_SB_SB_b
                                        ; -- End function
	.set _ZN9rocsparseL35bsrgeam_wf_per_row_multipass_kernelILj64ELj4EfEEv20rocsparse_direction_iiiNS_24const_host_device_scalarIT1_EEPKiS6_PKS3_S4_S6_S6_S8_S6_PiPS3_21rocsparse_index_base_SB_SB_b.num_vgpr, 30
	.set _ZN9rocsparseL35bsrgeam_wf_per_row_multipass_kernelILj64ELj4EfEEv20rocsparse_direction_iiiNS_24const_host_device_scalarIT1_EEPKiS6_PKS3_S4_S6_S6_S8_S6_PiPS3_21rocsparse_index_base_SB_SB_b.num_agpr, 0
	.set _ZN9rocsparseL35bsrgeam_wf_per_row_multipass_kernelILj64ELj4EfEEv20rocsparse_direction_iiiNS_24const_host_device_scalarIT1_EEPKiS6_PKS3_S4_S6_S6_S8_S6_PiPS3_21rocsparse_index_base_SB_SB_b.numbered_sgpr, 44
	.set _ZN9rocsparseL35bsrgeam_wf_per_row_multipass_kernelILj64ELj4EfEEv20rocsparse_direction_iiiNS_24const_host_device_scalarIT1_EEPKiS6_PKS3_S4_S6_S6_S8_S6_PiPS3_21rocsparse_index_base_SB_SB_b.num_named_barrier, 0
	.set _ZN9rocsparseL35bsrgeam_wf_per_row_multipass_kernelILj64ELj4EfEEv20rocsparse_direction_iiiNS_24const_host_device_scalarIT1_EEPKiS6_PKS3_S4_S6_S6_S8_S6_PiPS3_21rocsparse_index_base_SB_SB_b.private_seg_size, 0
	.set _ZN9rocsparseL35bsrgeam_wf_per_row_multipass_kernelILj64ELj4EfEEv20rocsparse_direction_iiiNS_24const_host_device_scalarIT1_EEPKiS6_PKS3_S4_S6_S6_S8_S6_PiPS3_21rocsparse_index_base_SB_SB_b.uses_vcc, 1
	.set _ZN9rocsparseL35bsrgeam_wf_per_row_multipass_kernelILj64ELj4EfEEv20rocsparse_direction_iiiNS_24const_host_device_scalarIT1_EEPKiS6_PKS3_S4_S6_S6_S8_S6_PiPS3_21rocsparse_index_base_SB_SB_b.uses_flat_scratch, 0
	.set _ZN9rocsparseL35bsrgeam_wf_per_row_multipass_kernelILj64ELj4EfEEv20rocsparse_direction_iiiNS_24const_host_device_scalarIT1_EEPKiS6_PKS3_S4_S6_S6_S8_S6_PiPS3_21rocsparse_index_base_SB_SB_b.has_dyn_sized_stack, 0
	.set _ZN9rocsparseL35bsrgeam_wf_per_row_multipass_kernelILj64ELj4EfEEv20rocsparse_direction_iiiNS_24const_host_device_scalarIT1_EEPKiS6_PKS3_S4_S6_S6_S8_S6_PiPS3_21rocsparse_index_base_SB_SB_b.has_recursion, 0
	.set _ZN9rocsparseL35bsrgeam_wf_per_row_multipass_kernelILj64ELj4EfEEv20rocsparse_direction_iiiNS_24const_host_device_scalarIT1_EEPKiS6_PKS3_S4_S6_S6_S8_S6_PiPS3_21rocsparse_index_base_SB_SB_b.has_indirect_call, 0
	.section	.AMDGPU.csdata,"",@progbits
; Kernel info:
; codeLenInByte = 1684
; TotalNumSgprs: 50
; NumVgprs: 30
; NumAgprs: 0
; TotalNumVgprs: 30
; ScratchSize: 0
; MemoryBound: 0
; FloatMode: 240
; IeeeMode: 1
; LDSByteSize: 288 bytes/workgroup (compile time only)
; SGPRBlocks: 6
; VGPRBlocks: 3
; NumSGPRsForWavesPerEU: 50
; NumVGPRsForWavesPerEU: 30
; AccumOffset: 32
; Occupancy: 8
; WaveLimiterHint : 0
; COMPUTE_PGM_RSRC2:SCRATCH_EN: 0
; COMPUTE_PGM_RSRC2:USER_SGPR: 2
; COMPUTE_PGM_RSRC2:TRAP_HANDLER: 0
; COMPUTE_PGM_RSRC2:TGID_X_EN: 1
; COMPUTE_PGM_RSRC2:TGID_Y_EN: 0
; COMPUTE_PGM_RSRC2:TGID_Z_EN: 0
; COMPUTE_PGM_RSRC2:TIDIG_COMP_CNT: 0
; COMPUTE_PGM_RSRC3_GFX90A:ACCUM_OFFSET: 7
; COMPUTE_PGM_RSRC3_GFX90A:TG_SPLIT: 0
	.section	.text._ZN9rocsparseL35bsrgeam_wf_per_row_multipass_kernelILj64ELj8EfEEv20rocsparse_direction_iiiNS_24const_host_device_scalarIT1_EEPKiS6_PKS3_S4_S6_S6_S8_S6_PiPS3_21rocsparse_index_base_SB_SB_b,"axG",@progbits,_ZN9rocsparseL35bsrgeam_wf_per_row_multipass_kernelILj64ELj8EfEEv20rocsparse_direction_iiiNS_24const_host_device_scalarIT1_EEPKiS6_PKS3_S4_S6_S6_S8_S6_PiPS3_21rocsparse_index_base_SB_SB_b,comdat
	.globl	_ZN9rocsparseL35bsrgeam_wf_per_row_multipass_kernelILj64ELj8EfEEv20rocsparse_direction_iiiNS_24const_host_device_scalarIT1_EEPKiS6_PKS3_S4_S6_S6_S8_S6_PiPS3_21rocsparse_index_base_SB_SB_b ; -- Begin function _ZN9rocsparseL35bsrgeam_wf_per_row_multipass_kernelILj64ELj8EfEEv20rocsparse_direction_iiiNS_24const_host_device_scalarIT1_EEPKiS6_PKS3_S4_S6_S6_S8_S6_PiPS3_21rocsparse_index_base_SB_SB_b
	.p2align	8
	.type	_ZN9rocsparseL35bsrgeam_wf_per_row_multipass_kernelILj64ELj8EfEEv20rocsparse_direction_iiiNS_24const_host_device_scalarIT1_EEPKiS6_PKS3_S4_S6_S6_S8_S6_PiPS3_21rocsparse_index_base_SB_SB_b,@function
_ZN9rocsparseL35bsrgeam_wf_per_row_multipass_kernelILj64ELj8EfEEv20rocsparse_direction_iiiNS_24const_host_device_scalarIT1_EEPKiS6_PKS3_S4_S6_S6_S8_S6_PiPS3_21rocsparse_index_base_SB_SB_b: ; @_ZN9rocsparseL35bsrgeam_wf_per_row_multipass_kernelILj64ELj8EfEEv20rocsparse_direction_iiiNS_24const_host_device_scalarIT1_EEPKiS6_PKS3_S4_S6_S6_S8_S6_PiPS3_21rocsparse_index_base_SB_SB_b
; %bb.0:
	s_load_dwordx4 s[4:7], s[0:1], 0x68
	s_load_dwordx2 s[16:17], s[0:1], 0x10
	s_load_dwordx2 s[18:19], s[0:1], 0x30
	s_waitcnt lgkmcnt(0)
	s_bitcmp1_b32 s7, 0
	s_cselect_b64 s[10:11], -1, 0
	s_xor_b64 s[8:9], s[10:11], -1
	s_and_b64 vcc, exec, s[10:11]
	s_cbranch_vccnz .LBB5_2
; %bb.1:
	s_load_dword s16, s[16:17], 0x0
.LBB5_2:
	s_nop 0
	s_load_dwordx2 s[20:21], s[0:1], 0x18
	s_andn2_b64 vcc, exec, s[8:9]
	s_cbranch_vccnz .LBB5_4
; %bb.3:
	s_load_dword s18, s[18:19], 0x0
.LBB5_4:
	s_nop 0
	s_load_dwordx4 s[8:11], s[0:1], 0x0
	v_mov_b32_e32 v1, 0
	v_mov_b32_e32 v8, s2
	;; [unrolled: 1-line block ×3, first 2 shown]
	s_waitcnt lgkmcnt(0)
	s_cmp_ge_i32 s2, s9
	s_cselect_b64 s[12:13], -1, 0
	s_cmp_lt_i32 s2, s9
	s_cselect_b64 s[14:15], -1, 0
	s_and_saveexec_b64 s[22:23], s[14:15]
	s_cbranch_execz .LBB5_6
; %bb.5:
	v_ashrrev_i32_e64 v9, 31, s2
	v_lshl_add_u64 v[2:3], v[8:9], 2, s[20:21]
	global_load_dword v2, v[2:3], off
	s_waitcnt vmcnt(0)
	v_subrev_u32_e32 v2, s4, v2
.LBB5_6:
	s_or_b64 exec, exec, s[22:23]
	s_load_dwordx2 s[22:23], s[0:1], 0x38
	s_and_saveexec_b64 s[24:25], s[14:15]
	s_cbranch_execz .LBB5_8
; %bb.7:
	v_ashrrev_i32_e64 v9, 31, s2
	v_lshl_add_u64 v[4:5], v[8:9], 2, s[20:21]
	global_load_dword v1, v[4:5], off offset:4
	s_waitcnt vmcnt(0)
	v_subrev_u32_e32 v1, s4, v1
.LBB5_8:
	s_or_b64 exec, exec, s[24:25]
	v_mov_b32_e32 v11, 0
	v_mov_b32_e32 v4, 0
	s_and_saveexec_b64 s[20:21], s[14:15]
	s_cbranch_execz .LBB5_10
; %bb.9:
	v_ashrrev_i32_e64 v9, 31, s2
	s_waitcnt lgkmcnt(0)
	v_lshl_add_u64 v[4:5], v[8:9], 2, s[22:23]
	global_load_dword v3, v[4:5], off
	s_waitcnt vmcnt(0)
	v_subrev_u32_e32 v4, s5, v3
.LBB5_10:
	s_or_b64 exec, exec, s[20:21]
	s_and_saveexec_b64 s[20:21], s[14:15]
	s_cbranch_execz .LBB5_12
; %bb.11:
	v_ashrrev_i32_e64 v9, 31, s2
	s_waitcnt lgkmcnt(0)
	v_lshl_add_u64 v[6:7], v[8:9], 2, s[22:23]
	global_load_dword v3, v[6:7], off offset:4
	s_waitcnt vmcnt(0)
	v_subrev_u32_e32 v11, s5, v3
.LBB5_12:
	s_or_b64 exec, exec, s[20:21]
	s_load_dwordx2 s[20:21], s[0:1], 0x20
	v_mov_b32_e32 v6, 0
	s_waitcnt lgkmcnt(0)
	s_and_saveexec_b64 s[22:23], s[14:15]
	s_cbranch_execz .LBB5_14
; %bb.13:
	s_load_dwordx2 s[14:15], s[0:1], 0x50
	v_ashrrev_i32_e64 v9, 31, s2
	s_waitcnt lgkmcnt(0)
	v_lshl_add_u64 v[6:7], v[8:9], 2, s[14:15]
	global_load_dword v3, v[6:7], off
	s_waitcnt vmcnt(0)
	v_subrev_u32_e32 v6, s6, v3
.LBB5_14:
	s_or_b64 exec, exec, s[22:23]
	s_load_dwordx2 s[22:23], s[0:1], 0x40
	v_cmp_lt_i32_e32 vcc, v2, v1
	v_mov_b32_e32 v3, s10
	s_and_saveexec_b64 s[2:3], vcc
	s_cbranch_execz .LBB5_16
; %bb.15:
	v_ashrrev_i32_e32 v3, 31, v2
	v_lshl_add_u64 v[8:9], v[2:3], 2, s[20:21]
	global_load_dword v3, v[8:9], off
	s_waitcnt vmcnt(0)
	v_subrev_u32_e32 v3, s4, v3
.LBB5_16:
	s_or_b64 exec, exec, s[2:3]
	v_cmp_lt_i32_e32 vcc, v4, v11
	v_mov_b32_e32 v5, s10
	s_and_saveexec_b64 s[2:3], vcc
	s_cbranch_execz .LBB5_18
; %bb.17:
	v_ashrrev_i32_e32 v5, 31, v4
	s_waitcnt lgkmcnt(0)
	v_lshl_add_u64 v[8:9], v[4:5], 2, s[22:23]
	global_load_dword v5, v[8:9], off
	s_waitcnt vmcnt(0)
	v_subrev_u32_e32 v5, s5, v5
.LBB5_18:
	s_or_b64 exec, exec, s[2:3]
	v_cndmask_b32_e64 v7, 0, 1, s[12:13]
	v_mov_b32_e32 v9, 0
	ds_write_b32 v9, v7 offset:256
	s_waitcnt lgkmcnt(0)
	; wave barrier
	ds_read_b32 v7, v9 offset:256
	s_waitcnt lgkmcnt(0)
	v_cmp_ne_u32_e32 vcc, 0, v7
	s_cbranch_vccz .LBB5_20
.LBB5_19:
	s_endpgm
.LBB5_20:
	s_load_dwordx4 s[12:15], s[0:1], 0x58
	s_load_dwordx2 s[24:25], s[0:1], 0x28
	s_load_dwordx2 s[26:27], s[0:1], 0x48
	v_and_b32_e32 v8, 7, v0
	v_lshrrev_b32_e32 v10, 3, v0
	v_lshlrev_b32_e32 v21, 2, v0
	v_max_i32_e32 v0, v10, v8
	v_cmp_gt_i32_e64 s[0:1], s11, v0
	s_cmp_lg_u32 s8, 0
	v_lshlrev_b32_e32 v0, 2, v8
	s_cselect_b64 s[28:29], -1, 0
	s_cmp_eq_u32 s8, 0
	v_lshl_or_b32 v22, v10, 5, v0
	v_lshlrev_b32_e32 v0, 2, v10
	v_lshl_or_b32 v23, v8, 5, v0
	s_cselect_b64 vcc, -1, 0
	v_mov_b32_e32 v13, 0x100
	v_min_i32_e32 v3, v5, v3
	v_mov_b32_e32 v20, 0x104
	v_cndmask_b32_e32 v0, v10, v8, vcc
	v_cndmask_b32_e32 v12, v8, v10, vcc
	;; [unrolled: 1-line block ×3, first 2 shown]
	s_mul_i32 s7, s11, s11
	v_mov_b32_e32 v25, 1
	s_branch .LBB5_22
.LBB5_21:                               ;   in Loop: Header=BB5_22 Depth=1
	s_or_b64 exec, exec, s[2:3]
	v_cmp_le_i32_e32 vcc, s10, v3
	; wave barrier
	s_nop 1
	v_cndmask_b32_e64 v5, 0, 1, vcc
	; wave barrier
	ds_write_b32 v13, v5
	s_waitcnt lgkmcnt(0)
	; wave barrier
	ds_read_b32 v5, v9 offset:256
	v_add_u32_e32 v6, 1, v6
	s_waitcnt lgkmcnt(0)
	v_cmp_eq_u32_e32 vcc, 0, v5
	s_cbranch_vccz .LBB5_19
.LBB5_22:                               ; =>This Loop Header: Depth=1
                                        ;     Child Loop BB5_25 Depth 2
                                        ;     Child Loop BB5_40 Depth 2
	v_mov_b32_e32 v7, v3
	v_cmp_lt_i32_e32 vcc, v2, v1
	v_mov_b32_e32 v3, s10
	ds_write_b32 v20, v9
	ds_write_b32 v21, v9
	s_waitcnt lgkmcnt(0)
	; wave barrier
	s_and_saveexec_b64 s[8:9], vcc
	s_cbranch_execz .LBB5_37
; %bb.23:                               ;   in Loop: Header=BB5_22 Depth=1
	v_mul_lo_u32 v3, s11, v2
	v_add_u32_e32 v5, v8, v3
	v_add_u32_e32 v3, v10, v3
	v_mad_u64_u32 v[16:17], s[2:3], s11, v3, v[8:9]
	v_ashrrev_i32_e32 v3, 31, v2
	v_mad_u64_u32 v[14:15], s[2:3], s11, v5, v[10:11]
	v_lshl_add_u64 v[18:19], v[2:3], 2, s[20:21]
	s_mov_b64 s[30:31], 0
	v_mov_b32_e32 v5, 0
	v_mov_b32_e32 v3, s10
	s_branch .LBB5_25
.LBB5_24:                               ;   in Loop: Header=BB5_25 Depth=2
	s_or_b64 exec, exec, s[36:37]
	s_and_b64 s[2:3], exec, s[34:35]
	v_mov_b32_e32 v17, v2
	s_or_b64 s[30:31], s[2:3], s[30:31]
	v_mov_b32_e32 v2, v15
	s_andn2_b64 exec, exec, s[30:31]
	s_cbranch_execz .LBB5_36
.LBB5_25:                               ;   Parent Loop BB5_22 Depth=1
                                        ; =>  This Inner Loop Header: Depth=2
	global_load_dword v15, v[18:19], off
	s_waitcnt vmcnt(0)
	v_subrev_u32_e32 v15, s4, v15
	v_cmp_le_i32_e64 s[2:3], v15, v7
	s_and_saveexec_b64 s[34:35], s[2:3]
	s_xor_b64 s[34:35], exec, s[34:35]
	s_cbranch_execz .LBB5_32
; %bb.26:                               ;   in Loop: Header=BB5_25 Depth=2
	ds_write_b32 v20, v25
	s_and_saveexec_b64 s[36:37], s[0:1]
	s_cbranch_execz .LBB5_31
; %bb.27:                               ;   in Loop: Header=BB5_25 Depth=2
	s_mov_b64 s[38:39], -1
	s_and_b64 vcc, exec, s[28:29]
	s_cbranch_vccz .LBB5_29
; %bb.28:                               ;   in Loop: Header=BB5_25 Depth=2
	v_add_u32_e32 v26, v16, v5
	v_ashrrev_i32_e32 v27, 31, v26
	v_lshl_add_u64 v[26:27], v[26:27], 2, s[24:25]
	global_load_dword v15, v[26:27], off
	s_mov_b64 s[38:39], 0
	s_waitcnt vmcnt(0)
	v_mul_f32_e32 v15, s16, v15
	ds_write_b32 v22, v15
.LBB5_29:                               ;   in Loop: Header=BB5_25 Depth=2
	s_andn2_b64 vcc, exec, s[38:39]
	s_cbranch_vccnz .LBB5_31
; %bb.30:                               ;   in Loop: Header=BB5_25 Depth=2
	v_add_u32_e32 v26, v14, v5
	v_ashrrev_i32_e32 v27, 31, v26
	v_lshl_add_u64 v[26:27], v[26:27], 2, s[24:25]
	global_load_dword v15, v[26:27], off
	s_waitcnt vmcnt(0)
	v_mul_f32_e32 v15, s16, v15
	ds_write_b32 v23, v15
.LBB5_31:                               ;   in Loop: Header=BB5_25 Depth=2
	s_or_b64 exec, exec, s[36:37]
                                        ; implicit-def: $vgpr15
	s_andn2_saveexec_b64 s[34:35], s[34:35]
	s_branch .LBB5_33
.LBB5_32:                               ;   in Loop: Header=BB5_25 Depth=2
	s_andn2_saveexec_b64 s[34:35], s[34:35]
.LBB5_33:                               ;   in Loop: Header=BB5_25 Depth=2
	v_min_i32_e32 v3, v15, v3
; %bb.34:                               ;   in Loop: Header=BB5_25 Depth=2
	s_or_b64 exec, exec, s[34:35]
	s_mov_b64 s[34:35], -1
                                        ; implicit-def: $vgpr15
	s_and_saveexec_b64 s[36:37], s[2:3]
	s_cbranch_execz .LBB5_24
; %bb.35:                               ;   in Loop: Header=BB5_25 Depth=2
	v_add_u32_e32 v15, 1, v2
	v_cmp_ge_i32_e32 vcc, v15, v1
	v_add_u32_e32 v5, s7, v5
	v_lshl_add_u64 v[18:19], v[18:19], 0, 4
	s_orn2_b64 s[34:35], vcc, exec
	v_mov_b32_e32 v2, v1
	s_branch .LBB5_24
.LBB5_36:                               ;   in Loop: Header=BB5_22 Depth=1
	s_or_b64 exec, exec, s[30:31]
	v_mov_b32_e32 v2, v17
.LBB5_37:                               ;   in Loop: Header=BB5_22 Depth=1
	s_or_b64 exec, exec, s[8:9]
	v_cmp_lt_i32_e32 vcc, v4, v11
	s_waitcnt lgkmcnt(0)
	; wave barrier
	s_and_saveexec_b64 s[8:9], vcc
	s_cbranch_execz .LBB5_52
; %bb.38:                               ;   in Loop: Header=BB5_22 Depth=1
	v_mul_lo_u32 v5, s11, v4
	v_add_u32_e32 v14, v8, v5
	v_add_u32_e32 v5, v10, v5
	v_mad_u64_u32 v[16:17], s[2:3], s11, v5, v[8:9]
	v_ashrrev_i32_e32 v5, 31, v4
	v_mad_u64_u32 v[14:15], s[2:3], s11, v14, v[10:11]
	v_lshl_add_u64 v[18:19], v[4:5], 2, s[22:23]
	s_mov_b64 s[30:31], 0
	v_mov_b32_e32 v5, 0
	s_branch .LBB5_40
.LBB5_39:                               ;   in Loop: Header=BB5_40 Depth=2
	s_or_b64 exec, exec, s[36:37]
	s_and_b64 s[2:3], exec, s[34:35]
	v_mov_b32_e32 v17, v4
	s_or_b64 s[30:31], s[2:3], s[30:31]
	v_mov_b32_e32 v4, v15
	s_andn2_b64 exec, exec, s[30:31]
	s_cbranch_execz .LBB5_51
.LBB5_40:                               ;   Parent Loop BB5_22 Depth=1
                                        ; =>  This Inner Loop Header: Depth=2
	global_load_dword v15, v[18:19], off
	s_waitcnt vmcnt(0)
	v_subrev_u32_e32 v15, s5, v15
	v_cmp_le_i32_e64 s[2:3], v15, v7
	s_and_saveexec_b64 s[34:35], s[2:3]
	s_xor_b64 s[34:35], exec, s[34:35]
	s_cbranch_execz .LBB5_47
; %bb.41:                               ;   in Loop: Header=BB5_40 Depth=2
	ds_write_b32 v20, v25
	s_and_saveexec_b64 s[36:37], s[0:1]
	s_cbranch_execz .LBB5_46
; %bb.42:                               ;   in Loop: Header=BB5_40 Depth=2
	s_mov_b64 s[38:39], -1
	s_and_b64 vcc, exec, s[28:29]
	s_cbranch_vccz .LBB5_44
; %bb.43:                               ;   in Loop: Header=BB5_40 Depth=2
	v_add_u32_e32 v26, v16, v5
	v_ashrrev_i32_e32 v27, 31, v26
	v_lshl_add_u64 v[26:27], v[26:27], 2, s[26:27]
	global_load_dword v15, v[26:27], off
	ds_read_b32 v17, v22
	s_mov_b64 s[38:39], 0
	s_waitcnt vmcnt(0) lgkmcnt(0)
	v_fmac_f32_e32 v17, s18, v15
	ds_write_b32 v22, v17
.LBB5_44:                               ;   in Loop: Header=BB5_40 Depth=2
	s_andn2_b64 vcc, exec, s[38:39]
	s_cbranch_vccnz .LBB5_46
; %bb.45:                               ;   in Loop: Header=BB5_40 Depth=2
	v_add_u32_e32 v26, v14, v5
	v_ashrrev_i32_e32 v27, 31, v26
	v_lshl_add_u64 v[26:27], v[26:27], 2, s[26:27]
	global_load_dword v15, v[26:27], off
	ds_read_b32 v17, v23
	s_waitcnt vmcnt(0) lgkmcnt(0)
	v_fmac_f32_e32 v17, s18, v15
	ds_write_b32 v23, v17
.LBB5_46:                               ;   in Loop: Header=BB5_40 Depth=2
	s_or_b64 exec, exec, s[36:37]
                                        ; implicit-def: $vgpr15
	s_andn2_saveexec_b64 s[34:35], s[34:35]
	s_branch .LBB5_48
.LBB5_47:                               ;   in Loop: Header=BB5_40 Depth=2
	s_andn2_saveexec_b64 s[34:35], s[34:35]
.LBB5_48:                               ;   in Loop: Header=BB5_40 Depth=2
	v_min_i32_e32 v3, v15, v3
; %bb.49:                               ;   in Loop: Header=BB5_40 Depth=2
	s_or_b64 exec, exec, s[34:35]
	s_mov_b64 s[34:35], -1
                                        ; implicit-def: $vgpr15
	s_and_saveexec_b64 s[36:37], s[2:3]
	s_cbranch_execz .LBB5_39
; %bb.50:                               ;   in Loop: Header=BB5_40 Depth=2
	v_add_u32_e32 v15, 1, v4
	v_cmp_ge_i32_e32 vcc, v15, v11
	v_add_u32_e32 v5, s7, v5
	v_lshl_add_u64 v[18:19], v[18:19], 0, 4
	s_orn2_b64 s[34:35], vcc, exec
	v_mov_b32_e32 v4, v11
	s_branch .LBB5_39
.LBB5_51:                               ;   in Loop: Header=BB5_22 Depth=1
	s_or_b64 exec, exec, s[30:31]
	v_mov_b32_e32 v4, v17
.LBB5_52:                               ;   in Loop: Header=BB5_22 Depth=1
	s_or_b64 exec, exec, s[8:9]
	s_waitcnt lgkmcnt(0)
	; wave barrier
	ds_read_b32 v5, v20
	s_waitcnt lgkmcnt(0)
	v_cmp_ne_u32_e32 vcc, 0, v5
	s_and_saveexec_b64 s[2:3], vcc
	s_cbranch_execz .LBB5_21
; %bb.53:                               ;   in Loop: Header=BB5_22 Depth=1
	v_add_u32_e32 v5, s6, v7
	v_ashrrev_i32_e32 v7, 31, v6
	v_lshl_add_u64 v[14:15], v[6:7], 2, s[12:13]
	global_store_dword v[14:15], v5, off
	s_and_b64 exec, exec, s[0:1]
	s_cbranch_execz .LBB5_21
; %bb.54:                               ;   in Loop: Header=BB5_22 Depth=1
	ds_read_b32 v5, v24
	v_mad_u64_u32 v[14:15], s[8:9], v6, s11, v[0:1]
	v_mad_u64_u32 v[14:15], s[8:9], v14, s11, v[12:13]
	v_ashrrev_i32_e32 v15, 31, v14
	v_lshl_add_u64 v[14:15], v[14:15], 2, s[14:15]
	s_waitcnt lgkmcnt(0)
	global_store_dword v[14:15], v5, off
	s_branch .LBB5_21
	.section	.rodata,"a",@progbits
	.p2align	6, 0x0
	.amdhsa_kernel _ZN9rocsparseL35bsrgeam_wf_per_row_multipass_kernelILj64ELj8EfEEv20rocsparse_direction_iiiNS_24const_host_device_scalarIT1_EEPKiS6_PKS3_S4_S6_S6_S8_S6_PiPS3_21rocsparse_index_base_SB_SB_b
		.amdhsa_group_segment_fixed_size 264
		.amdhsa_private_segment_fixed_size 0
		.amdhsa_kernarg_size 120
		.amdhsa_user_sgpr_count 2
		.amdhsa_user_sgpr_dispatch_ptr 0
		.amdhsa_user_sgpr_queue_ptr 0
		.amdhsa_user_sgpr_kernarg_segment_ptr 1
		.amdhsa_user_sgpr_dispatch_id 0
		.amdhsa_user_sgpr_kernarg_preload_length 0
		.amdhsa_user_sgpr_kernarg_preload_offset 0
		.amdhsa_user_sgpr_private_segment_size 0
		.amdhsa_uses_dynamic_stack 0
		.amdhsa_enable_private_segment 0
		.amdhsa_system_sgpr_workgroup_id_x 1
		.amdhsa_system_sgpr_workgroup_id_y 0
		.amdhsa_system_sgpr_workgroup_id_z 0
		.amdhsa_system_sgpr_workgroup_info 0
		.amdhsa_system_vgpr_workitem_id 0
		.amdhsa_next_free_vgpr 28
		.amdhsa_next_free_sgpr 40
		.amdhsa_accum_offset 28
		.amdhsa_reserve_vcc 1
		.amdhsa_float_round_mode_32 0
		.amdhsa_float_round_mode_16_64 0
		.amdhsa_float_denorm_mode_32 3
		.amdhsa_float_denorm_mode_16_64 3
		.amdhsa_dx10_clamp 1
		.amdhsa_ieee_mode 1
		.amdhsa_fp16_overflow 0
		.amdhsa_tg_split 0
		.amdhsa_exception_fp_ieee_invalid_op 0
		.amdhsa_exception_fp_denorm_src 0
		.amdhsa_exception_fp_ieee_div_zero 0
		.amdhsa_exception_fp_ieee_overflow 0
		.amdhsa_exception_fp_ieee_underflow 0
		.amdhsa_exception_fp_ieee_inexact 0
		.amdhsa_exception_int_div_zero 0
	.end_amdhsa_kernel
	.section	.text._ZN9rocsparseL35bsrgeam_wf_per_row_multipass_kernelILj64ELj8EfEEv20rocsparse_direction_iiiNS_24const_host_device_scalarIT1_EEPKiS6_PKS3_S4_S6_S6_S8_S6_PiPS3_21rocsparse_index_base_SB_SB_b,"axG",@progbits,_ZN9rocsparseL35bsrgeam_wf_per_row_multipass_kernelILj64ELj8EfEEv20rocsparse_direction_iiiNS_24const_host_device_scalarIT1_EEPKiS6_PKS3_S4_S6_S6_S8_S6_PiPS3_21rocsparse_index_base_SB_SB_b,comdat
.Lfunc_end5:
	.size	_ZN9rocsparseL35bsrgeam_wf_per_row_multipass_kernelILj64ELj8EfEEv20rocsparse_direction_iiiNS_24const_host_device_scalarIT1_EEPKiS6_PKS3_S4_S6_S6_S8_S6_PiPS3_21rocsparse_index_base_SB_SB_b, .Lfunc_end5-_ZN9rocsparseL35bsrgeam_wf_per_row_multipass_kernelILj64ELj8EfEEv20rocsparse_direction_iiiNS_24const_host_device_scalarIT1_EEPKiS6_PKS3_S4_S6_S6_S8_S6_PiPS3_21rocsparse_index_base_SB_SB_b
                                        ; -- End function
	.set _ZN9rocsparseL35bsrgeam_wf_per_row_multipass_kernelILj64ELj8EfEEv20rocsparse_direction_iiiNS_24const_host_device_scalarIT1_EEPKiS6_PKS3_S4_S6_S6_S8_S6_PiPS3_21rocsparse_index_base_SB_SB_b.num_vgpr, 28
	.set _ZN9rocsparseL35bsrgeam_wf_per_row_multipass_kernelILj64ELj8EfEEv20rocsparse_direction_iiiNS_24const_host_device_scalarIT1_EEPKiS6_PKS3_S4_S6_S6_S8_S6_PiPS3_21rocsparse_index_base_SB_SB_b.num_agpr, 0
	.set _ZN9rocsparseL35bsrgeam_wf_per_row_multipass_kernelILj64ELj8EfEEv20rocsparse_direction_iiiNS_24const_host_device_scalarIT1_EEPKiS6_PKS3_S4_S6_S6_S8_S6_PiPS3_21rocsparse_index_base_SB_SB_b.numbered_sgpr, 40
	.set _ZN9rocsparseL35bsrgeam_wf_per_row_multipass_kernelILj64ELj8EfEEv20rocsparse_direction_iiiNS_24const_host_device_scalarIT1_EEPKiS6_PKS3_S4_S6_S6_S8_S6_PiPS3_21rocsparse_index_base_SB_SB_b.num_named_barrier, 0
	.set _ZN9rocsparseL35bsrgeam_wf_per_row_multipass_kernelILj64ELj8EfEEv20rocsparse_direction_iiiNS_24const_host_device_scalarIT1_EEPKiS6_PKS3_S4_S6_S6_S8_S6_PiPS3_21rocsparse_index_base_SB_SB_b.private_seg_size, 0
	.set _ZN9rocsparseL35bsrgeam_wf_per_row_multipass_kernelILj64ELj8EfEEv20rocsparse_direction_iiiNS_24const_host_device_scalarIT1_EEPKiS6_PKS3_S4_S6_S6_S8_S6_PiPS3_21rocsparse_index_base_SB_SB_b.uses_vcc, 1
	.set _ZN9rocsparseL35bsrgeam_wf_per_row_multipass_kernelILj64ELj8EfEEv20rocsparse_direction_iiiNS_24const_host_device_scalarIT1_EEPKiS6_PKS3_S4_S6_S6_S8_S6_PiPS3_21rocsparse_index_base_SB_SB_b.uses_flat_scratch, 0
	.set _ZN9rocsparseL35bsrgeam_wf_per_row_multipass_kernelILj64ELj8EfEEv20rocsparse_direction_iiiNS_24const_host_device_scalarIT1_EEPKiS6_PKS3_S4_S6_S6_S8_S6_PiPS3_21rocsparse_index_base_SB_SB_b.has_dyn_sized_stack, 0
	.set _ZN9rocsparseL35bsrgeam_wf_per_row_multipass_kernelILj64ELj8EfEEv20rocsparse_direction_iiiNS_24const_host_device_scalarIT1_EEPKiS6_PKS3_S4_S6_S6_S8_S6_PiPS3_21rocsparse_index_base_SB_SB_b.has_recursion, 0
	.set _ZN9rocsparseL35bsrgeam_wf_per_row_multipass_kernelILj64ELj8EfEEv20rocsparse_direction_iiiNS_24const_host_device_scalarIT1_EEPKiS6_PKS3_S4_S6_S6_S8_S6_PiPS3_21rocsparse_index_base_SB_SB_b.has_indirect_call, 0
	.section	.AMDGPU.csdata,"",@progbits
; Kernel info:
; codeLenInByte = 1572
; TotalNumSgprs: 46
; NumVgprs: 28
; NumAgprs: 0
; TotalNumVgprs: 28
; ScratchSize: 0
; MemoryBound: 0
; FloatMode: 240
; IeeeMode: 1
; LDSByteSize: 264 bytes/workgroup (compile time only)
; SGPRBlocks: 5
; VGPRBlocks: 3
; NumSGPRsForWavesPerEU: 46
; NumVGPRsForWavesPerEU: 28
; AccumOffset: 28
; Occupancy: 8
; WaveLimiterHint : 0
; COMPUTE_PGM_RSRC2:SCRATCH_EN: 0
; COMPUTE_PGM_RSRC2:USER_SGPR: 2
; COMPUTE_PGM_RSRC2:TRAP_HANDLER: 0
; COMPUTE_PGM_RSRC2:TGID_X_EN: 1
; COMPUTE_PGM_RSRC2:TGID_Y_EN: 0
; COMPUTE_PGM_RSRC2:TGID_Z_EN: 0
; COMPUTE_PGM_RSRC2:TIDIG_COMP_CNT: 0
; COMPUTE_PGM_RSRC3_GFX90A:ACCUM_OFFSET: 6
; COMPUTE_PGM_RSRC3_GFX90A:TG_SPLIT: 0
	.section	.text._ZN9rocsparseL39bsrgeam_block_per_row_multipass_kernel2ILj256ELj16EfEEv20rocsparse_direction_iiiNS_24const_host_device_scalarIT1_EEPKiS6_PKS3_S4_S6_S6_S8_S6_PiPS3_21rocsparse_index_base_SB_SB_b,"axG",@progbits,_ZN9rocsparseL39bsrgeam_block_per_row_multipass_kernel2ILj256ELj16EfEEv20rocsparse_direction_iiiNS_24const_host_device_scalarIT1_EEPKiS6_PKS3_S4_S6_S6_S8_S6_PiPS3_21rocsparse_index_base_SB_SB_b,comdat
	.globl	_ZN9rocsparseL39bsrgeam_block_per_row_multipass_kernel2ILj256ELj16EfEEv20rocsparse_direction_iiiNS_24const_host_device_scalarIT1_EEPKiS6_PKS3_S4_S6_S6_S8_S6_PiPS3_21rocsparse_index_base_SB_SB_b ; -- Begin function _ZN9rocsparseL39bsrgeam_block_per_row_multipass_kernel2ILj256ELj16EfEEv20rocsparse_direction_iiiNS_24const_host_device_scalarIT1_EEPKiS6_PKS3_S4_S6_S6_S8_S6_PiPS3_21rocsparse_index_base_SB_SB_b
	.p2align	8
	.type	_ZN9rocsparseL39bsrgeam_block_per_row_multipass_kernel2ILj256ELj16EfEEv20rocsparse_direction_iiiNS_24const_host_device_scalarIT1_EEPKiS6_PKS3_S4_S6_S6_S8_S6_PiPS3_21rocsparse_index_base_SB_SB_b,@function
_ZN9rocsparseL39bsrgeam_block_per_row_multipass_kernel2ILj256ELj16EfEEv20rocsparse_direction_iiiNS_24const_host_device_scalarIT1_EEPKiS6_PKS3_S4_S6_S6_S8_S6_PiPS3_21rocsparse_index_base_SB_SB_b: ; @_ZN9rocsparseL39bsrgeam_block_per_row_multipass_kernel2ILj256ELj16EfEEv20rocsparse_direction_iiiNS_24const_host_device_scalarIT1_EEPKiS6_PKS3_S4_S6_S6_S8_S6_PiPS3_21rocsparse_index_base_SB_SB_b
; %bb.0:
	s_load_dwordx4 s[4:7], s[0:1], 0x68
	s_load_dwordx2 s[16:17], s[0:1], 0x50
	s_load_dwordx4 s[8:11], s[0:1], 0x10
	s_load_dwordx4 s[12:15], s[0:1], 0x30
	s_waitcnt lgkmcnt(0)
	s_bitcmp1_b32 s7, 0
	s_cselect_b64 s[20:21], -1, 0
	s_xor_b64 s[18:19], s[20:21], -1
	s_and_b64 vcc, exec, s[20:21]
	s_cbranch_vccnz .LBB6_2
; %bb.1:
	s_load_dword s8, s[8:9], 0x0
.LBB6_2:
	s_nop 0
	s_load_dwordx2 s[20:21], s[0:1], 0x20
	s_andn2_b64 vcc, exec, s[18:19]
	s_cbranch_vccnz .LBB6_4
; %bb.3:
	s_load_dword s12, s[12:13], 0x0
.LBB6_4:
	s_ashr_i32 s3, s2, 31
	s_lshl_b64 s[18:19], s[2:3], 2
	s_add_u32 s22, s10, s18
	s_addc_u32 s23, s11, s19
	s_load_dwordx2 s[28:29], s[22:23], 0x0
	s_load_dwordx2 s[2:3], s[0:1], 0x40
	;; [unrolled: 1-line block ×3, first 2 shown]
	s_waitcnt lgkmcnt(0)
	s_sub_i32 s22, s28, s4
	s_add_u32 s14, s14, s18
	s_addc_u32 s15, s15, s19
	s_load_dwordx2 s[30:31], s[14:15], 0x0
	s_add_u32 s26, s16, s18
	s_addc_u32 s27, s17, s19
	s_cmp_ge_i32 s28, s29
	s_mov_b32 s13, s10
	s_cbranch_scc1 .LBB6_6
; %bb.5:
	s_ashr_i32 s23, s22, 31
	s_lshl_b64 s[14:15], s[22:23], 2
	s_add_u32 s14, s20, s14
	s_addc_u32 s15, s21, s15
	s_load_dword s7, s[14:15], 0x0
	s_waitcnt lgkmcnt(0)
	s_sub_i32 s13, s7, s4
.LBB6_6:
	s_load_dwordx4 s[16:19], s[0:1], 0x58
	s_load_dwordx2 s[14:15], s[0:1], 0x28
	s_load_dwordx2 s[24:25], s[0:1], 0x48
	s_load_dword s23, s[26:27], 0x0
	s_waitcnt lgkmcnt(0)
	s_sub_i32 s26, s30, s5
	s_cmp_ge_i32 s30, s31
	s_mov_b32 s27, s10
	s_cbranch_scc1 .LBB6_8
; %bb.7:
	s_ashr_i32 s27, s26, 31
	s_lshl_b64 s[34:35], s[26:27], 2
	s_add_u32 s34, s2, s34
	s_addc_u32 s35, s3, s35
	s_load_dword s7, s[34:35], 0x0
	s_waitcnt lgkmcnt(0)
	s_sub_i32 s27, s7, s5
.LBB6_8:
	s_sub_i32 s28, s23, s6
	s_load_dword s23, s[0:1], 0x0
	v_and_b32_e32 v2, 15, v0
	v_lshrrev_b32_e32 v4, 4, v0
	v_cmp_gt_u32_e32 vcc, s11, v2
	v_cmp_gt_i32_e64 s[0:1], s11, v4
	s_sub_i32 s7, s29, s4
	s_sub_i32 s9, s31, s5
	s_min_i32 s29, s27, s13
	s_and_b64 s[0:1], vcc, s[0:1]
	v_lshlrev_b32_e32 v3, 2, v0
	v_lshlrev_b32_e32 v0, 2, v4
	s_waitcnt lgkmcnt(0)
	s_cmp_lg_u32 s23, 0
	v_lshlrev_b32_e32 v6, 6, v2
	s_cselect_b64 s[30:31], -1, 0
	s_mul_i32 s13, s11, s11
	v_mov_b32_e32 v1, 0
	v_mov_b32_e32 v5, 1
	v_add_u32_e32 v10, v0, v6
	s_branch .LBB6_11
.LBB6_9:                                ;   in Loop: Header=BB6_11 Depth=1
	s_or_b64 exec, exec, s[34:35]
.LBB6_10:                               ;   in Loop: Header=BB6_11 Depth=1
	s_barrier
	ds_read_b32 v0, v1 offset:1024
	s_mov_b32 s29, s27
	s_waitcnt lgkmcnt(0)
	s_barrier
	v_readfirstlane_b32 s23, v0
	s_add_i32 s28, s23, s28
	s_cmp_lt_i32 s27, s10
	s_cbranch_scc0 .LBB6_49
.LBB6_11:                               ; =>This Loop Header: Depth=1
                                        ;     Child Loop BB6_13 Depth 2
                                        ;     Child Loop BB6_29 Depth 2
	s_cmp_ge_i32 s22, s7
	ds_write_b32 v1, v1 offset:1024
	ds_write_b32 v3, v1
	s_waitcnt lgkmcnt(0)
	s_barrier
	s_cbranch_scc1 .LBB6_26
; %bb.12:                               ;   in Loop: Header=BB6_11 Depth=1
	s_mul_i32 s23, s11, s22
	v_add_u32_e32 v0, s23, v4
	v_mad_u64_u32 v[6:7], s[34:35], s11, v0, v[2:3]
	v_add_u32_e32 v0, s23, v2
	v_mad_u64_u32 v[8:9], s[34:35], s11, v0, v[4:5]
	s_ashr_i32 s23, s22, 31
	s_lshl_b64 s[34:35], s[22:23], 2
	s_add_u32 s34, s20, s34
	s_addc_u32 s35, s21, s35
	s_mov_b32 s27, 0
	s_mov_b32 s33, s10
.LBB6_13:                               ;   Parent Loop BB6_11 Depth=1
                                        ; =>  This Inner Loop Header: Depth=2
	s_load_dword s23, s[34:35], 0x0
	s_mov_b64 s[38:39], -1
	s_waitcnt lgkmcnt(0)
	s_sub_i32 s40, s23, s4
	s_cmp_eq_u32 s40, s29
	s_cselect_b64 s[36:37], -1, 0
	s_cmp_lg_u32 s40, s29
                                        ; implicit-def: $sgpr23
	s_cbranch_scc1 .LBB6_17
; %bb.14:                               ;   in Loop: Header=BB6_13 Depth=2
	s_andn2_b64 vcc, exec, s[38:39]
	s_cbranch_vccz .LBB6_18
.LBB6_15:                               ;   in Loop: Header=BB6_13 Depth=2
	s_andn2_b64 vcc, exec, s[36:37]
	s_mov_b64 s[36:37], -1
	s_cbranch_vccnz .LBB6_23
.LBB6_16:                               ;   in Loop: Header=BB6_13 Depth=2
	s_add_i32 s22, s22, 1
	s_add_i32 s27, s27, s13
	s_add_u32 s34, s34, 4
	s_addc_u32 s35, s35, 0
	s_cmp_ge_i32 s22, s7
	s_cselect_b64 s[36:37], -1, 0
	s_andn2_b64 vcc, exec, s[36:37]
	s_cbranch_vccnz .LBB6_24
	s_branch .LBB6_27
.LBB6_17:                               ;   in Loop: Header=BB6_13 Depth=2
	s_min_i32 s23, s40, s33
	s_cbranch_execnz .LBB6_15
.LBB6_18:                               ;   in Loop: Header=BB6_13 Depth=2
	ds_write_b32 v1, v5 offset:1024
	s_and_saveexec_b64 s[38:39], s[0:1]
	s_cbranch_execz .LBB6_22
; %bb.19:                               ;   in Loop: Header=BB6_13 Depth=2
	s_and_b64 vcc, exec, s[30:31]
	s_cbranch_vccz .LBB6_25
; %bb.20:                               ;   in Loop: Header=BB6_13 Depth=2
	v_add_u32_e32 v0, s27, v8
	v_lshl_add_u64 v[12:13], v[0:1], 2, s[14:15]
	global_load_dword v0, v[12:13], off
	s_waitcnt vmcnt(0)
	v_mul_f32_e32 v0, s8, v0
	ds_write_b32 v10, v0
	s_cbranch_execnz .LBB6_22
.LBB6_21:                               ;   in Loop: Header=BB6_13 Depth=2
	v_add_u32_e32 v0, s27, v6
	v_lshl_add_u64 v[12:13], v[0:1], 2, s[14:15]
	global_load_dword v0, v[12:13], off
	s_waitcnt vmcnt(0)
	v_mul_f32_e32 v0, s8, v0
	ds_write_b32 v3, v0
.LBB6_22:                               ;   in Loop: Header=BB6_13 Depth=2
	s_or_b64 exec, exec, s[38:39]
	s_mov_b32 s23, s33
	s_andn2_b64 vcc, exec, s[36:37]
	s_mov_b64 s[36:37], -1
	s_cbranch_vccz .LBB6_16
.LBB6_23:                               ;   in Loop: Header=BB6_13 Depth=2
                                        ; implicit-def: $sgpr27
                                        ; implicit-def: $sgpr34_sgpr35
	s_andn2_b64 vcc, exec, s[36:37]
	s_cbranch_vccz .LBB6_27
.LBB6_24:                               ;   in Loop: Header=BB6_13 Depth=2
	s_mov_b32 s33, s23
	s_branch .LBB6_13
.LBB6_25:                               ;   in Loop: Header=BB6_13 Depth=2
	s_branch .LBB6_21
.LBB6_26:                               ;   in Loop: Header=BB6_11 Depth=1
	s_mov_b32 s23, s10
.LBB6_27:                               ;   in Loop: Header=BB6_11 Depth=1
	s_cmp_ge_i32 s26, s9
	s_waitcnt lgkmcnt(0)
	s_barrier
	s_cbranch_scc1 .LBB6_42
; %bb.28:                               ;   in Loop: Header=BB6_11 Depth=1
	s_mul_i32 s27, s11, s26
	v_add_u32_e32 v0, s27, v4
	v_mad_u64_u32 v[6:7], s[34:35], s11, v0, v[2:3]
	v_add_u32_e32 v0, s27, v2
	v_mad_u64_u32 v[8:9], s[34:35], s11, v0, v[4:5]
	s_ashr_i32 s27, s26, 31
	s_lshl_b64 s[34:35], s[26:27], 2
	s_add_u32 s34, s2, s34
	s_addc_u32 s35, s3, s35
	s_mov_b32 s33, 0
.LBB6_29:                               ;   Parent Loop BB6_11 Depth=1
                                        ; =>  This Inner Loop Header: Depth=2
	s_load_dword s27, s[34:35], 0x0
	s_mov_b64 s[38:39], -1
	s_waitcnt lgkmcnt(0)
	s_sub_i32 s40, s27, s5
	s_cmp_eq_u32 s40, s29
	s_cselect_b64 s[36:37], -1, 0
	s_cmp_lg_u32 s40, s29
                                        ; implicit-def: $sgpr27
	s_cbranch_scc1 .LBB6_33
; %bb.30:                               ;   in Loop: Header=BB6_29 Depth=2
	s_andn2_b64 vcc, exec, s[38:39]
	s_cbranch_vccz .LBB6_34
.LBB6_31:                               ;   in Loop: Header=BB6_29 Depth=2
	s_andn2_b64 vcc, exec, s[36:37]
	s_mov_b64 s[36:37], -1
	s_cbranch_vccnz .LBB6_39
.LBB6_32:                               ;   in Loop: Header=BB6_29 Depth=2
	s_add_i32 s26, s26, 1
	s_add_i32 s33, s33, s13
	s_add_u32 s34, s34, 4
	s_addc_u32 s35, s35, 0
	s_cmp_ge_i32 s26, s9
	s_cselect_b64 s[36:37], -1, 0
	s_andn2_b64 vcc, exec, s[36:37]
	s_cbranch_vccnz .LBB6_40
	s_branch .LBB6_43
.LBB6_33:                               ;   in Loop: Header=BB6_29 Depth=2
	s_min_i32 s27, s40, s23
	s_cbranch_execnz .LBB6_31
.LBB6_34:                               ;   in Loop: Header=BB6_29 Depth=2
	ds_write_b32 v1, v5 offset:1024
	s_and_saveexec_b64 s[38:39], s[0:1]
	s_cbranch_execz .LBB6_38
; %bb.35:                               ;   in Loop: Header=BB6_29 Depth=2
	s_and_b64 vcc, exec, s[30:31]
	s_cbranch_vccz .LBB6_41
; %bb.36:                               ;   in Loop: Header=BB6_29 Depth=2
	v_add_u32_e32 v0, s33, v8
	v_lshl_add_u64 v[12:13], v[0:1], 2, s[24:25]
	global_load_dword v0, v[12:13], off
	ds_read_b32 v7, v10
	s_waitcnt vmcnt(0) lgkmcnt(0)
	v_fmac_f32_e32 v7, s12, v0
	ds_write_b32 v10, v7
	s_cbranch_execnz .LBB6_38
.LBB6_37:                               ;   in Loop: Header=BB6_29 Depth=2
	v_add_u32_e32 v0, s33, v6
	v_lshl_add_u64 v[12:13], v[0:1], 2, s[24:25]
	global_load_dword v0, v[12:13], off
	ds_read_b32 v7, v3
	s_waitcnt vmcnt(0) lgkmcnt(0)
	v_fmac_f32_e32 v7, s12, v0
	ds_write_b32 v3, v7
.LBB6_38:                               ;   in Loop: Header=BB6_29 Depth=2
	s_or_b64 exec, exec, s[38:39]
	s_mov_b32 s27, s23
	s_andn2_b64 vcc, exec, s[36:37]
	s_mov_b64 s[36:37], -1
	s_cbranch_vccz .LBB6_32
.LBB6_39:                               ;   in Loop: Header=BB6_29 Depth=2
                                        ; implicit-def: $sgpr33
                                        ; implicit-def: $sgpr34_sgpr35
	s_andn2_b64 vcc, exec, s[36:37]
	s_cbranch_vccz .LBB6_43
.LBB6_40:                               ;   in Loop: Header=BB6_29 Depth=2
	s_mov_b32 s23, s27
	s_branch .LBB6_29
.LBB6_41:                               ;   in Loop: Header=BB6_29 Depth=2
	s_branch .LBB6_37
.LBB6_42:                               ;   in Loop: Header=BB6_11 Depth=1
	s_mov_b32 s27, s23
.LBB6_43:                               ;   in Loop: Header=BB6_11 Depth=1
	s_waitcnt lgkmcnt(0)
	s_barrier
	ds_read_b32 v0, v1 offset:1024
	s_waitcnt lgkmcnt(0)
	v_cmp_eq_u32_e32 vcc, 0, v0
	s_cbranch_vccnz .LBB6_10
; %bb.44:                               ;   in Loop: Header=BB6_11 Depth=1
	s_add_i32 s23, s29, s6
	s_ashr_i32 s29, s28, 31
	s_lshl_b64 s[34:35], s[28:29], 2
	s_add_u32 s34, s16, s34
	s_addc_u32 s35, s17, s35
	v_mov_b32_e32 v0, s23
	global_store_dword v1, v0, s[34:35]
	s_and_saveexec_b64 s[34:35], s[0:1]
	s_cbranch_execz .LBB6_9
; %bb.45:                               ;   in Loop: Header=BB6_11 Depth=1
	s_mul_i32 s23, s28, s11
	s_and_b64 vcc, exec, s[30:31]
	s_cbranch_vccz .LBB6_47
; %bb.46:                               ;   in Loop: Header=BB6_11 Depth=1
	ds_read_b32 v8, v10
	v_add_u32_e32 v0, s23, v2
	v_mad_u64_u32 v[6:7], s[36:37], v0, s11, v[4:5]
	v_mov_b32_e32 v7, v1
	v_lshl_add_u64 v[6:7], v[6:7], 2, s[18:19]
	s_waitcnt lgkmcnt(0)
	global_store_dword v[6:7], v8, off
	s_cbranch_execnz .LBB6_9
	s_branch .LBB6_48
.LBB6_47:                               ;   in Loop: Header=BB6_11 Depth=1
.LBB6_48:                               ;   in Loop: Header=BB6_11 Depth=1
	ds_read_b32 v8, v3
	v_add_u32_e32 v0, s23, v4
	v_mad_u64_u32 v[6:7], s[36:37], v0, s11, v[2:3]
	v_mov_b32_e32 v7, v1
	v_lshl_add_u64 v[6:7], v[6:7], 2, s[18:19]
	s_waitcnt lgkmcnt(0)
	global_store_dword v[6:7], v8, off
	s_branch .LBB6_9
.LBB6_49:
	s_endpgm
	.section	.rodata,"a",@progbits
	.p2align	6, 0x0
	.amdhsa_kernel _ZN9rocsparseL39bsrgeam_block_per_row_multipass_kernel2ILj256ELj16EfEEv20rocsparse_direction_iiiNS_24const_host_device_scalarIT1_EEPKiS6_PKS3_S4_S6_S6_S8_S6_PiPS3_21rocsparse_index_base_SB_SB_b
		.amdhsa_group_segment_fixed_size 1028
		.amdhsa_private_segment_fixed_size 0
		.amdhsa_kernarg_size 120
		.amdhsa_user_sgpr_count 2
		.amdhsa_user_sgpr_dispatch_ptr 0
		.amdhsa_user_sgpr_queue_ptr 0
		.amdhsa_user_sgpr_kernarg_segment_ptr 1
		.amdhsa_user_sgpr_dispatch_id 0
		.amdhsa_user_sgpr_kernarg_preload_length 0
		.amdhsa_user_sgpr_kernarg_preload_offset 0
		.amdhsa_user_sgpr_private_segment_size 0
		.amdhsa_uses_dynamic_stack 0
		.amdhsa_enable_private_segment 0
		.amdhsa_system_sgpr_workgroup_id_x 1
		.amdhsa_system_sgpr_workgroup_id_y 0
		.amdhsa_system_sgpr_workgroup_id_z 0
		.amdhsa_system_sgpr_workgroup_info 0
		.amdhsa_system_vgpr_workitem_id 0
		.amdhsa_next_free_vgpr 14
		.amdhsa_next_free_sgpr 41
		.amdhsa_accum_offset 16
		.amdhsa_reserve_vcc 1
		.amdhsa_float_round_mode_32 0
		.amdhsa_float_round_mode_16_64 0
		.amdhsa_float_denorm_mode_32 3
		.amdhsa_float_denorm_mode_16_64 3
		.amdhsa_dx10_clamp 1
		.amdhsa_ieee_mode 1
		.amdhsa_fp16_overflow 0
		.amdhsa_tg_split 0
		.amdhsa_exception_fp_ieee_invalid_op 0
		.amdhsa_exception_fp_denorm_src 0
		.amdhsa_exception_fp_ieee_div_zero 0
		.amdhsa_exception_fp_ieee_overflow 0
		.amdhsa_exception_fp_ieee_underflow 0
		.amdhsa_exception_fp_ieee_inexact 0
		.amdhsa_exception_int_div_zero 0
	.end_amdhsa_kernel
	.section	.text._ZN9rocsparseL39bsrgeam_block_per_row_multipass_kernel2ILj256ELj16EfEEv20rocsparse_direction_iiiNS_24const_host_device_scalarIT1_EEPKiS6_PKS3_S4_S6_S6_S8_S6_PiPS3_21rocsparse_index_base_SB_SB_b,"axG",@progbits,_ZN9rocsparseL39bsrgeam_block_per_row_multipass_kernel2ILj256ELj16EfEEv20rocsparse_direction_iiiNS_24const_host_device_scalarIT1_EEPKiS6_PKS3_S4_S6_S6_S8_S6_PiPS3_21rocsparse_index_base_SB_SB_b,comdat
.Lfunc_end6:
	.size	_ZN9rocsparseL39bsrgeam_block_per_row_multipass_kernel2ILj256ELj16EfEEv20rocsparse_direction_iiiNS_24const_host_device_scalarIT1_EEPKiS6_PKS3_S4_S6_S6_S8_S6_PiPS3_21rocsparse_index_base_SB_SB_b, .Lfunc_end6-_ZN9rocsparseL39bsrgeam_block_per_row_multipass_kernel2ILj256ELj16EfEEv20rocsparse_direction_iiiNS_24const_host_device_scalarIT1_EEPKiS6_PKS3_S4_S6_S6_S8_S6_PiPS3_21rocsparse_index_base_SB_SB_b
                                        ; -- End function
	.set _ZN9rocsparseL39bsrgeam_block_per_row_multipass_kernel2ILj256ELj16EfEEv20rocsparse_direction_iiiNS_24const_host_device_scalarIT1_EEPKiS6_PKS3_S4_S6_S6_S8_S6_PiPS3_21rocsparse_index_base_SB_SB_b.num_vgpr, 14
	.set _ZN9rocsparseL39bsrgeam_block_per_row_multipass_kernel2ILj256ELj16EfEEv20rocsparse_direction_iiiNS_24const_host_device_scalarIT1_EEPKiS6_PKS3_S4_S6_S6_S8_S6_PiPS3_21rocsparse_index_base_SB_SB_b.num_agpr, 0
	.set _ZN9rocsparseL39bsrgeam_block_per_row_multipass_kernel2ILj256ELj16EfEEv20rocsparse_direction_iiiNS_24const_host_device_scalarIT1_EEPKiS6_PKS3_S4_S6_S6_S8_S6_PiPS3_21rocsparse_index_base_SB_SB_b.numbered_sgpr, 41
	.set _ZN9rocsparseL39bsrgeam_block_per_row_multipass_kernel2ILj256ELj16EfEEv20rocsparse_direction_iiiNS_24const_host_device_scalarIT1_EEPKiS6_PKS3_S4_S6_S6_S8_S6_PiPS3_21rocsparse_index_base_SB_SB_b.num_named_barrier, 0
	.set _ZN9rocsparseL39bsrgeam_block_per_row_multipass_kernel2ILj256ELj16EfEEv20rocsparse_direction_iiiNS_24const_host_device_scalarIT1_EEPKiS6_PKS3_S4_S6_S6_S8_S6_PiPS3_21rocsparse_index_base_SB_SB_b.private_seg_size, 0
	.set _ZN9rocsparseL39bsrgeam_block_per_row_multipass_kernel2ILj256ELj16EfEEv20rocsparse_direction_iiiNS_24const_host_device_scalarIT1_EEPKiS6_PKS3_S4_S6_S6_S8_S6_PiPS3_21rocsparse_index_base_SB_SB_b.uses_vcc, 1
	.set _ZN9rocsparseL39bsrgeam_block_per_row_multipass_kernel2ILj256ELj16EfEEv20rocsparse_direction_iiiNS_24const_host_device_scalarIT1_EEPKiS6_PKS3_S4_S6_S6_S8_S6_PiPS3_21rocsparse_index_base_SB_SB_b.uses_flat_scratch, 0
	.set _ZN9rocsparseL39bsrgeam_block_per_row_multipass_kernel2ILj256ELj16EfEEv20rocsparse_direction_iiiNS_24const_host_device_scalarIT1_EEPKiS6_PKS3_S4_S6_S6_S8_S6_PiPS3_21rocsparse_index_base_SB_SB_b.has_dyn_sized_stack, 0
	.set _ZN9rocsparseL39bsrgeam_block_per_row_multipass_kernel2ILj256ELj16EfEEv20rocsparse_direction_iiiNS_24const_host_device_scalarIT1_EEPKiS6_PKS3_S4_S6_S6_S8_S6_PiPS3_21rocsparse_index_base_SB_SB_b.has_recursion, 0
	.set _ZN9rocsparseL39bsrgeam_block_per_row_multipass_kernel2ILj256ELj16EfEEv20rocsparse_direction_iiiNS_24const_host_device_scalarIT1_EEPKiS6_PKS3_S4_S6_S6_S8_S6_PiPS3_21rocsparse_index_base_SB_SB_b.has_indirect_call, 0
	.section	.AMDGPU.csdata,"",@progbits
; Kernel info:
; codeLenInByte = 1264
; TotalNumSgprs: 47
; NumVgprs: 14
; NumAgprs: 0
; TotalNumVgprs: 14
; ScratchSize: 0
; MemoryBound: 0
; FloatMode: 240
; IeeeMode: 1
; LDSByteSize: 1028 bytes/workgroup (compile time only)
; SGPRBlocks: 5
; VGPRBlocks: 1
; NumSGPRsForWavesPerEU: 47
; NumVGPRsForWavesPerEU: 14
; AccumOffset: 16
; Occupancy: 8
; WaveLimiterHint : 1
; COMPUTE_PGM_RSRC2:SCRATCH_EN: 0
; COMPUTE_PGM_RSRC2:USER_SGPR: 2
; COMPUTE_PGM_RSRC2:TRAP_HANDLER: 0
; COMPUTE_PGM_RSRC2:TGID_X_EN: 1
; COMPUTE_PGM_RSRC2:TGID_Y_EN: 0
; COMPUTE_PGM_RSRC2:TGID_Z_EN: 0
; COMPUTE_PGM_RSRC2:TIDIG_COMP_CNT: 0
; COMPUTE_PGM_RSRC3_GFX90A:ACCUM_OFFSET: 3
; COMPUTE_PGM_RSRC3_GFX90A:TG_SPLIT: 0
	.section	.text._ZN9rocsparseL39bsrgeam_block_per_row_multipass_kernel2ILj256ELj32EfEEv20rocsparse_direction_iiiNS_24const_host_device_scalarIT1_EEPKiS6_PKS3_S4_S6_S6_S8_S6_PiPS3_21rocsparse_index_base_SB_SB_b,"axG",@progbits,_ZN9rocsparseL39bsrgeam_block_per_row_multipass_kernel2ILj256ELj32EfEEv20rocsparse_direction_iiiNS_24const_host_device_scalarIT1_EEPKiS6_PKS3_S4_S6_S6_S8_S6_PiPS3_21rocsparse_index_base_SB_SB_b,comdat
	.globl	_ZN9rocsparseL39bsrgeam_block_per_row_multipass_kernel2ILj256ELj32EfEEv20rocsparse_direction_iiiNS_24const_host_device_scalarIT1_EEPKiS6_PKS3_S4_S6_S6_S8_S6_PiPS3_21rocsparse_index_base_SB_SB_b ; -- Begin function _ZN9rocsparseL39bsrgeam_block_per_row_multipass_kernel2ILj256ELj32EfEEv20rocsparse_direction_iiiNS_24const_host_device_scalarIT1_EEPKiS6_PKS3_S4_S6_S6_S8_S6_PiPS3_21rocsparse_index_base_SB_SB_b
	.p2align	8
	.type	_ZN9rocsparseL39bsrgeam_block_per_row_multipass_kernel2ILj256ELj32EfEEv20rocsparse_direction_iiiNS_24const_host_device_scalarIT1_EEPKiS6_PKS3_S4_S6_S6_S8_S6_PiPS3_21rocsparse_index_base_SB_SB_b,@function
_ZN9rocsparseL39bsrgeam_block_per_row_multipass_kernel2ILj256ELj32EfEEv20rocsparse_direction_iiiNS_24const_host_device_scalarIT1_EEPKiS6_PKS3_S4_S6_S6_S8_S6_PiPS3_21rocsparse_index_base_SB_SB_b: ; @_ZN9rocsparseL39bsrgeam_block_per_row_multipass_kernel2ILj256ELj32EfEEv20rocsparse_direction_iiiNS_24const_host_device_scalarIT1_EEPKiS6_PKS3_S4_S6_S6_S8_S6_PiPS3_21rocsparse_index_base_SB_SB_b
; %bb.0:
	s_load_dwordx4 s[4:7], s[0:1], 0x68
	s_load_dwordx2 s[16:17], s[0:1], 0x50
	s_load_dwordx4 s[8:11], s[0:1], 0x10
	s_load_dwordx4 s[12:15], s[0:1], 0x30
	s_waitcnt lgkmcnt(0)
	s_bitcmp1_b32 s7, 0
	s_cselect_b64 s[20:21], -1, 0
	s_xor_b64 s[18:19], s[20:21], -1
	s_and_b64 vcc, exec, s[20:21]
	s_cbranch_vccnz .LBB7_2
; %bb.1:
	s_load_dword s8, s[8:9], 0x0
.LBB7_2:
	s_nop 0
	s_load_dwordx2 s[20:21], s[0:1], 0x20
	s_andn2_b64 vcc, exec, s[18:19]
	s_cbranch_vccnz .LBB7_4
; %bb.3:
	s_load_dword s12, s[12:13], 0x0
.LBB7_4:
	s_ashr_i32 s3, s2, 31
	s_lshl_b64 s[18:19], s[2:3], 2
	s_add_u32 s22, s10, s18
	s_addc_u32 s23, s11, s19
	s_load_dwordx2 s[28:29], s[22:23], 0x0
	s_load_dwordx2 s[2:3], s[0:1], 0x40
	;; [unrolled: 1-line block ×3, first 2 shown]
	s_waitcnt lgkmcnt(0)
	s_sub_i32 s22, s28, s4
	s_add_u32 s14, s14, s18
	s_addc_u32 s15, s15, s19
	s_load_dwordx2 s[30:31], s[14:15], 0x0
	s_add_u32 s26, s16, s18
	s_addc_u32 s27, s17, s19
	s_cmp_ge_i32 s28, s29
	s_mov_b32 s13, s10
	s_cbranch_scc1 .LBB7_6
; %bb.5:
	s_ashr_i32 s23, s22, 31
	s_lshl_b64 s[14:15], s[22:23], 2
	s_add_u32 s14, s20, s14
	s_addc_u32 s15, s21, s15
	s_load_dword s7, s[14:15], 0x0
	s_waitcnt lgkmcnt(0)
	s_sub_i32 s13, s7, s4
.LBB7_6:
	s_load_dwordx4 s[16:19], s[0:1], 0x58
	s_load_dwordx2 s[14:15], s[0:1], 0x28
	s_load_dwordx2 s[24:25], s[0:1], 0x48
	s_load_dword s23, s[26:27], 0x0
	s_waitcnt lgkmcnt(0)
	s_sub_i32 s26, s30, s5
	s_cmp_ge_i32 s30, s31
	s_mov_b32 s27, s10
	s_cbranch_scc1 .LBB7_8
; %bb.7:
	s_ashr_i32 s27, s26, 31
	s_lshl_b64 s[34:35], s[26:27], 2
	s_add_u32 s34, s2, s34
	s_addc_u32 s35, s3, s35
	s_load_dword s7, s[34:35], 0x0
	s_waitcnt lgkmcnt(0)
	s_sub_i32 s27, s7, s5
.LBB7_8:
	s_load_dword s0, s[0:1], 0x0
	v_and_b32_e32 v2, 7, v0
	v_lshrrev_b32_e32 v0, 3, v0
	s_sub_i32 s7, s29, s4
	s_sub_i32 s9, s31, s5
	;; [unrolled: 1-line block ×3, first 2 shown]
	s_min_i32 s29, s27, s13
	v_lshlrev_b32_e32 v3, 7, v0
	s_movk_i32 s1, 0xff84
	v_cmp_gt_i32_e32 vcc, s11, v0
	v_mad_i32_i24 v4, v0, s1, v3
	s_waitcnt lgkmcnt(0)
	s_cmp_lg_u32 s0, 0
	v_cmp_gt_u32_e64 s[0:1], s11, v2
	v_or_b32_e32 v19, 8, v2
	s_cselect_b64 s[30:31], -1, 0
	s_and_b64 s[34:35], vcc, s[0:1]
	v_cmp_gt_u32_e64 s[0:1], s11, v19
	v_or_b32_e32 v21, 16, v2
	s_and_b64 s[36:37], vcc, s[0:1]
	v_cmp_gt_u32_e64 s[0:1], s11, v21
	v_or_b32_e32 v23, 24, v2
	v_lshl_or_b32 v1, v2, 2, v3
	v_lshl_add_u32 v18, v2, 7, v4
	v_lshl_add_u32 v20, v19, 7, v4
	s_and_b64 s[38:39], vcc, s[0:1]
	v_lshl_add_u32 v22, v21, 7, v4
	v_cmp_gt_u32_e64 s[0:1], s11, v23
	v_lshl_add_u32 v24, v23, 7, v4
	v_cndmask_b32_e64 v4, 0, 1, s[30:31]
	v_or_b32_e32 v3, 32, v1
	v_or_b32_e32 v16, 64, v1
	;; [unrolled: 1-line block ×3, first 2 shown]
	s_and_b64 s[40:41], vcc, s[0:1]
	s_mul_i32 s13, s11, s11
	v_mov_b32_e32 v5, 0
	v_mov_b32_e32 v25, 1
	v_cmp_ne_u32_e64 s[0:1], 1, v4
	s_branch .LBB7_12
.LBB7_9:                                ;   in Loop: Header=BB7_12 Depth=1
	ds_read_b32 v8, v7
	v_lshl_add_u64 v[6:7], v[4:5], 2, s[18:19]
	s_waitcnt lgkmcnt(0)
	global_store_dword v[6:7], v8, off
.LBB7_10:                               ;   in Loop: Header=BB7_12 Depth=1
	s_or_b64 exec, exec, s[42:43]
.LBB7_11:                               ;   in Loop: Header=BB7_12 Depth=1
	s_barrier
	ds_read_b32 v4, v5 offset:4096
	s_mov_b32 s29, s27
	s_waitcnt lgkmcnt(0)
	s_barrier
	v_readfirstlane_b32 s23, v4
	s_add_i32 s28, s23, s28
	s_cmp_lt_i32 s27, s10
	s_cbranch_scc0 .LBB7_98
.LBB7_12:                               ; =>This Loop Header: Depth=1
                                        ;     Child Loop BB7_14 Depth 2
                                        ;     Child Loop BB7_45 Depth 2
	s_cmp_ge_i32 s22, s7
	ds_write_b32 v5, v5 offset:4096
	ds_write2_b32 v1, v5, v5 offset1:8
	ds_write2_b32 v1, v5, v5 offset0:16 offset1:24
	s_waitcnt lgkmcnt(0)
	s_barrier
	s_cbranch_scc1 .LBB7_42
; %bb.13:                               ;   in Loop: Header=BB7_12 Depth=1
	s_mul_i32 s23, s11, s22
	v_add_u32_e32 v4, s23, v2
	v_mad_u64_u32 v[6:7], s[42:43], s11, v4, v[0:1]
	v_add_u32_e32 v4, s23, v19
	v_mad_u64_u32 v[8:9], s[42:43], s11, v4, v[0:1]
	;; [unrolled: 2-line block ×5, first 2 shown]
	s_ashr_i32 s23, s22, 31
	s_lshl_b64 s[42:43], s[22:23], 2
	s_add_u32 s42, s20, s42
	s_addc_u32 s43, s21, s43
	s_mov_b32 s27, 0
	s_mov_b32 s33, s10
.LBB7_14:                               ;   Parent Loop BB7_12 Depth=1
                                        ; =>  This Inner Loop Header: Depth=2
	s_load_dword s23, s[42:43], 0x0
	s_mov_b64 s[46:47], -1
	s_waitcnt lgkmcnt(0)
	s_sub_i32 s48, s23, s4
	s_cmp_eq_u32 s48, s29
	s_cselect_b64 s[44:45], -1, 0
	s_cmp_lg_u32 s48, s29
                                        ; implicit-def: $sgpr23
	s_cbranch_scc1 .LBB7_18
; %bb.15:                               ;   in Loop: Header=BB7_14 Depth=2
	s_andn2_b64 vcc, exec, s[46:47]
	s_cbranch_vccz .LBB7_19
.LBB7_16:                               ;   in Loop: Header=BB7_14 Depth=2
	s_andn2_b64 vcc, exec, s[44:45]
	s_mov_b64 s[44:45], -1
	s_cbranch_vccnz .LBB7_36
.LBB7_17:                               ;   in Loop: Header=BB7_14 Depth=2
	s_add_i32 s22, s22, 1
	s_add_i32 s27, s27, s13
	s_add_u32 s42, s42, 4
	s_addc_u32 s43, s43, 0
	s_cmp_ge_i32 s22, s7
	s_cselect_b64 s[44:45], -1, 0
	s_andn2_b64 vcc, exec, s[44:45]
	s_cbranch_vccnz .LBB7_37
	s_branch .LBB7_43
.LBB7_18:                               ;   in Loop: Header=BB7_14 Depth=2
	s_min_i32 s23, s48, s33
	s_cbranch_execnz .LBB7_16
.LBB7_19:                               ;   in Loop: Header=BB7_14 Depth=2
	ds_write_b32 v5, v25 offset:4096
	s_and_saveexec_b64 s[46:47], s[34:35]
	s_cbranch_execz .LBB7_23
; %bb.20:                               ;   in Loop: Header=BB7_14 Depth=2
	s_and_b64 vcc, exec, s[30:31]
	s_cbranch_vccz .LBB7_38
; %bb.21:                               ;   in Loop: Header=BB7_14 Depth=2
	v_add_u32_e32 v4, s27, v6
	v_lshl_add_u64 v[26:27], v[4:5], 2, s[14:15]
	global_load_dword v4, v[26:27], off
	s_waitcnt vmcnt(0)
	v_mul_f32_e32 v4, s8, v4
	ds_write_b32 v18, v4
	s_cbranch_execnz .LBB7_23
.LBB7_22:                               ;   in Loop: Header=BB7_14 Depth=2
	v_add_u32_e32 v4, s27, v14
	v_lshl_add_u64 v[26:27], v[4:5], 2, s[14:15]
	global_load_dword v4, v[26:27], off
	s_waitcnt vmcnt(0)
	v_mul_f32_e32 v4, s8, v4
	ds_write_b32 v1, v4
.LBB7_23:                               ;   in Loop: Header=BB7_14 Depth=2
	s_or_b64 exec, exec, s[46:47]
	s_and_saveexec_b64 s[46:47], s[36:37]
	s_cbranch_execz .LBB7_27
; %bb.24:                               ;   in Loop: Header=BB7_14 Depth=2
	s_and_b64 vcc, exec, s[0:1]
	s_cbranch_vccnz .LBB7_39
; %bb.25:                               ;   in Loop: Header=BB7_14 Depth=2
	v_add_u32_e32 v4, s27, v8
	v_lshl_add_u64 v[26:27], v[4:5], 2, s[14:15]
	global_load_dword v4, v[26:27], off
	s_waitcnt vmcnt(0)
	v_mul_f32_e32 v4, s8, v4
	ds_write_b32 v20, v4
	s_cbranch_execnz .LBB7_27
.LBB7_26:                               ;   in Loop: Header=BB7_14 Depth=2
	v_add3_u32 v4, v14, s27, 8
	v_lshl_add_u64 v[26:27], v[4:5], 2, s[14:15]
	global_load_dword v4, v[26:27], off
	s_waitcnt vmcnt(0)
	v_mul_f32_e32 v4, s8, v4
	ds_write_b32 v3, v4
.LBB7_27:                               ;   in Loop: Header=BB7_14 Depth=2
	s_or_b64 exec, exec, s[46:47]
	s_and_saveexec_b64 s[46:47], s[38:39]
	s_cbranch_execz .LBB7_31
; %bb.28:                               ;   in Loop: Header=BB7_14 Depth=2
	s_and_b64 vcc, exec, s[0:1]
	s_cbranch_vccnz .LBB7_40
; %bb.29:                               ;   in Loop: Header=BB7_14 Depth=2
	v_add_u32_e32 v4, s27, v10
	v_lshl_add_u64 v[26:27], v[4:5], 2, s[14:15]
	global_load_dword v4, v[26:27], off
	s_waitcnt vmcnt(0)
	v_mul_f32_e32 v4, s8, v4
	ds_write_b32 v22, v4
	s_cbranch_execnz .LBB7_31
.LBB7_30:                               ;   in Loop: Header=BB7_14 Depth=2
	v_add3_u32 v4, v14, s27, 16
	v_lshl_add_u64 v[26:27], v[4:5], 2, s[14:15]
	global_load_dword v4, v[26:27], off
	s_waitcnt vmcnt(0)
	v_mul_f32_e32 v4, s8, v4
	ds_write_b32 v16, v4
.LBB7_31:                               ;   in Loop: Header=BB7_14 Depth=2
	s_or_b64 exec, exec, s[46:47]
	s_and_saveexec_b64 s[46:47], s[40:41]
	s_cbranch_execz .LBB7_35
; %bb.32:                               ;   in Loop: Header=BB7_14 Depth=2
	s_and_b64 vcc, exec, s[0:1]
	s_cbranch_vccnz .LBB7_41
; %bb.33:                               ;   in Loop: Header=BB7_14 Depth=2
	v_add_u32_e32 v4, s27, v12
	v_lshl_add_u64 v[26:27], v[4:5], 2, s[14:15]
	global_load_dword v4, v[26:27], off
	s_waitcnt vmcnt(0)
	v_mul_f32_e32 v4, s8, v4
	ds_write_b32 v24, v4
	s_cbranch_execnz .LBB7_35
.LBB7_34:                               ;   in Loop: Header=BB7_14 Depth=2
	v_add3_u32 v4, v14, s27, 24
	v_lshl_add_u64 v[26:27], v[4:5], 2, s[14:15]
	global_load_dword v4, v[26:27], off
	s_waitcnt vmcnt(0)
	v_mul_f32_e32 v4, s8, v4
	ds_write_b32 v17, v4
.LBB7_35:                               ;   in Loop: Header=BB7_14 Depth=2
	s_or_b64 exec, exec, s[46:47]
	s_mov_b32 s23, s33
	s_andn2_b64 vcc, exec, s[44:45]
	s_mov_b64 s[44:45], -1
	s_cbranch_vccz .LBB7_17
.LBB7_36:                               ;   in Loop: Header=BB7_14 Depth=2
                                        ; implicit-def: $sgpr27
                                        ; implicit-def: $sgpr42_sgpr43
	s_andn2_b64 vcc, exec, s[44:45]
	s_cbranch_vccz .LBB7_43
.LBB7_37:                               ;   in Loop: Header=BB7_14 Depth=2
	s_mov_b32 s33, s23
	s_branch .LBB7_14
.LBB7_38:                               ;   in Loop: Header=BB7_14 Depth=2
	s_branch .LBB7_22
.LBB7_39:                               ;   in Loop: Header=BB7_14 Depth=2
	s_branch .LBB7_26
.LBB7_40:                               ;   in Loop: Header=BB7_14 Depth=2
	s_branch .LBB7_30
.LBB7_41:                               ;   in Loop: Header=BB7_14 Depth=2
	s_branch .LBB7_34
.LBB7_42:                               ;   in Loop: Header=BB7_12 Depth=1
	s_mov_b32 s23, s10
.LBB7_43:                               ;   in Loop: Header=BB7_12 Depth=1
	s_cmp_ge_i32 s26, s9
	s_waitcnt lgkmcnt(0)
	s_barrier
	s_cbranch_scc1 .LBB7_73
; %bb.44:                               ;   in Loop: Header=BB7_12 Depth=1
	s_mul_i32 s27, s11, s26
	v_add_u32_e32 v4, s27, v2
	v_mad_u64_u32 v[6:7], s[42:43], s11, v4, v[0:1]
	v_add_u32_e32 v4, s27, v19
	v_mad_u64_u32 v[8:9], s[42:43], s11, v4, v[0:1]
	;; [unrolled: 2-line block ×5, first 2 shown]
	s_ashr_i32 s27, s26, 31
	s_lshl_b64 s[42:43], s[26:27], 2
	s_add_u32 s42, s2, s42
	s_addc_u32 s43, s3, s43
	s_mov_b32 s33, 0
.LBB7_45:                               ;   Parent Loop BB7_12 Depth=1
                                        ; =>  This Inner Loop Header: Depth=2
	s_load_dword s27, s[42:43], 0x0
	s_mov_b64 s[46:47], -1
	s_waitcnt lgkmcnt(0)
	s_sub_i32 s48, s27, s5
	s_cmp_eq_u32 s48, s29
	s_cselect_b64 s[44:45], -1, 0
	s_cmp_lg_u32 s48, s29
                                        ; implicit-def: $sgpr27
	s_cbranch_scc1 .LBB7_49
; %bb.46:                               ;   in Loop: Header=BB7_45 Depth=2
	s_andn2_b64 vcc, exec, s[46:47]
	s_cbranch_vccz .LBB7_50
.LBB7_47:                               ;   in Loop: Header=BB7_45 Depth=2
	s_andn2_b64 vcc, exec, s[44:45]
	s_mov_b64 s[44:45], -1
	s_cbranch_vccnz .LBB7_67
.LBB7_48:                               ;   in Loop: Header=BB7_45 Depth=2
	s_add_i32 s26, s26, 1
	s_add_i32 s33, s33, s13
	s_add_u32 s42, s42, 4
	s_addc_u32 s43, s43, 0
	s_cmp_ge_i32 s26, s9
	s_cselect_b64 s[44:45], -1, 0
	s_andn2_b64 vcc, exec, s[44:45]
	s_cbranch_vccnz .LBB7_68
	s_branch .LBB7_74
.LBB7_49:                               ;   in Loop: Header=BB7_45 Depth=2
	s_min_i32 s27, s48, s23
	s_cbranch_execnz .LBB7_47
.LBB7_50:                               ;   in Loop: Header=BB7_45 Depth=2
	ds_write_b32 v5, v25 offset:4096
	s_and_saveexec_b64 s[46:47], s[34:35]
	s_cbranch_execz .LBB7_54
; %bb.51:                               ;   in Loop: Header=BB7_45 Depth=2
	s_and_b64 vcc, exec, s[30:31]
	s_cbranch_vccz .LBB7_69
; %bb.52:                               ;   in Loop: Header=BB7_45 Depth=2
	v_add_u32_e32 v4, s33, v6
	v_lshl_add_u64 v[26:27], v[4:5], 2, s[24:25]
	global_load_dword v4, v[26:27], off
	ds_read_b32 v7, v18
	s_waitcnt vmcnt(0) lgkmcnt(0)
	v_fmac_f32_e32 v7, s12, v4
	ds_write_b32 v18, v7
	s_cbranch_execnz .LBB7_54
.LBB7_53:                               ;   in Loop: Header=BB7_45 Depth=2
	v_add_u32_e32 v4, s33, v14
	v_lshl_add_u64 v[26:27], v[4:5], 2, s[24:25]
	global_load_dword v4, v[26:27], off
	ds_read_b32 v7, v1
	s_waitcnt vmcnt(0) lgkmcnt(0)
	v_fmac_f32_e32 v7, s12, v4
	ds_write_b32 v1, v7
.LBB7_54:                               ;   in Loop: Header=BB7_45 Depth=2
	s_or_b64 exec, exec, s[46:47]
	s_and_saveexec_b64 s[46:47], s[36:37]
	s_cbranch_execz .LBB7_58
; %bb.55:                               ;   in Loop: Header=BB7_45 Depth=2
	s_and_b64 vcc, exec, s[0:1]
	s_cbranch_vccnz .LBB7_70
; %bb.56:                               ;   in Loop: Header=BB7_45 Depth=2
	v_add_u32_e32 v4, s33, v8
	v_lshl_add_u64 v[26:27], v[4:5], 2, s[24:25]
	global_load_dword v4, v[26:27], off
	ds_read_b32 v7, v20
	s_waitcnt vmcnt(0) lgkmcnt(0)
	v_fmac_f32_e32 v7, s12, v4
	ds_write_b32 v20, v7
	s_cbranch_execnz .LBB7_58
.LBB7_57:                               ;   in Loop: Header=BB7_45 Depth=2
	v_add3_u32 v4, v14, s33, 8
	v_lshl_add_u64 v[26:27], v[4:5], 2, s[24:25]
	global_load_dword v4, v[26:27], off
	ds_read_b32 v7, v3
	s_waitcnt vmcnt(0) lgkmcnt(0)
	v_fmac_f32_e32 v7, s12, v4
	ds_write_b32 v3, v7
.LBB7_58:                               ;   in Loop: Header=BB7_45 Depth=2
	s_or_b64 exec, exec, s[46:47]
	s_and_saveexec_b64 s[46:47], s[38:39]
	s_cbranch_execz .LBB7_62
; %bb.59:                               ;   in Loop: Header=BB7_45 Depth=2
	s_and_b64 vcc, exec, s[0:1]
	s_cbranch_vccnz .LBB7_71
; %bb.60:                               ;   in Loop: Header=BB7_45 Depth=2
	v_add_u32_e32 v4, s33, v10
	v_lshl_add_u64 v[26:27], v[4:5], 2, s[24:25]
	global_load_dword v4, v[26:27], off
	ds_read_b32 v7, v22
	s_waitcnt vmcnt(0) lgkmcnt(0)
	v_fmac_f32_e32 v7, s12, v4
	ds_write_b32 v22, v7
	s_cbranch_execnz .LBB7_62
.LBB7_61:                               ;   in Loop: Header=BB7_45 Depth=2
	v_add3_u32 v4, v14, s33, 16
	v_lshl_add_u64 v[26:27], v[4:5], 2, s[24:25]
	global_load_dword v4, v[26:27], off
	ds_read_b32 v7, v16
	s_waitcnt vmcnt(0) lgkmcnt(0)
	v_fmac_f32_e32 v7, s12, v4
	ds_write_b32 v16, v7
.LBB7_62:                               ;   in Loop: Header=BB7_45 Depth=2
	s_or_b64 exec, exec, s[46:47]
	s_and_saveexec_b64 s[46:47], s[40:41]
	s_cbranch_execz .LBB7_66
; %bb.63:                               ;   in Loop: Header=BB7_45 Depth=2
	s_and_b64 vcc, exec, s[0:1]
	s_cbranch_vccnz .LBB7_72
; %bb.64:                               ;   in Loop: Header=BB7_45 Depth=2
	v_add_u32_e32 v4, s33, v12
	v_lshl_add_u64 v[26:27], v[4:5], 2, s[24:25]
	global_load_dword v4, v[26:27], off
	ds_read_b32 v7, v24
	s_waitcnt vmcnt(0) lgkmcnt(0)
	v_fmac_f32_e32 v7, s12, v4
	ds_write_b32 v24, v7
	s_cbranch_execnz .LBB7_66
.LBB7_65:                               ;   in Loop: Header=BB7_45 Depth=2
	v_add3_u32 v4, v14, s33, 24
	v_lshl_add_u64 v[26:27], v[4:5], 2, s[24:25]
	global_load_dword v4, v[26:27], off
	ds_read_b32 v7, v17
	s_waitcnt vmcnt(0) lgkmcnt(0)
	v_fmac_f32_e32 v7, s12, v4
	ds_write_b32 v17, v7
.LBB7_66:                               ;   in Loop: Header=BB7_45 Depth=2
	s_or_b64 exec, exec, s[46:47]
	s_mov_b32 s27, s23
	s_andn2_b64 vcc, exec, s[44:45]
	s_mov_b64 s[44:45], -1
	s_cbranch_vccz .LBB7_48
.LBB7_67:                               ;   in Loop: Header=BB7_45 Depth=2
                                        ; implicit-def: $sgpr33
                                        ; implicit-def: $sgpr42_sgpr43
	s_andn2_b64 vcc, exec, s[44:45]
	s_cbranch_vccz .LBB7_74
.LBB7_68:                               ;   in Loop: Header=BB7_45 Depth=2
	s_mov_b32 s23, s27
	s_branch .LBB7_45
.LBB7_69:                               ;   in Loop: Header=BB7_45 Depth=2
	s_branch .LBB7_53
.LBB7_70:                               ;   in Loop: Header=BB7_45 Depth=2
	s_branch .LBB7_57
.LBB7_71:                               ;   in Loop: Header=BB7_45 Depth=2
	s_branch .LBB7_61
.LBB7_72:                               ;   in Loop: Header=BB7_45 Depth=2
	s_branch .LBB7_65
.LBB7_73:                               ;   in Loop: Header=BB7_12 Depth=1
	s_mov_b32 s27, s23
.LBB7_74:                               ;   in Loop: Header=BB7_12 Depth=1
	s_waitcnt lgkmcnt(0)
	s_barrier
	ds_read_b32 v4, v5 offset:4096
	s_waitcnt lgkmcnt(0)
	v_cmp_eq_u32_e32 vcc, 0, v4
	s_cbranch_vccnz .LBB7_11
; %bb.75:                               ;   in Loop: Header=BB7_12 Depth=1
	s_add_i32 s23, s29, s6
	s_ashr_i32 s29, s28, 31
	s_lshl_b64 s[42:43], s[28:29], 2
	s_add_u32 s42, s16, s42
	s_addc_u32 s43, s17, s43
	v_mov_b32_e32 v4, s23
	s_mul_i32 s23, s28, s11
	global_store_dword v5, v4, s[42:43]
	v_add_u32_e32 v4, s23, v0
	v_mul_lo_u32 v6, v4, s11
	s_and_saveexec_b64 s[42:43], s[34:35]
	s_cbranch_execnz .LBB7_79
; %bb.76:                               ;   in Loop: Header=BB7_12 Depth=1
	s_or_b64 exec, exec, s[42:43]
	s_and_saveexec_b64 s[42:43], s[36:37]
	s_cbranch_execnz .LBB7_83
.LBB7_77:                               ;   in Loop: Header=BB7_12 Depth=1
	s_or_b64 exec, exec, s[42:43]
	s_and_saveexec_b64 s[42:43], s[38:39]
	s_cbranch_execnz .LBB7_87
.LBB7_78:                               ;   in Loop: Header=BB7_12 Depth=1
	s_or_b64 exec, exec, s[42:43]
	s_and_saveexec_b64 s[42:43], s[40:41]
	s_cbranch_execz .LBB7_10
	s_branch .LBB7_91
.LBB7_79:                               ;   in Loop: Header=BB7_12 Depth=1
	s_and_b64 vcc, exec, s[30:31]
	s_cbranch_vccz .LBB7_93
; %bb.80:                               ;   in Loop: Header=BB7_12 Depth=1
	v_add_u32_e32 v4, s23, v2
	v_mad_u64_u32 v[8:9], s[44:45], v4, s11, v[0:1]
	v_mov_b32_e32 v4, v8
	v_mov_b32_e32 v7, v18
	s_cbranch_execnz .LBB7_82
.LBB7_81:                               ;   in Loop: Header=BB7_12 Depth=1
	v_add_u32_e32 v4, v6, v2
	v_mov_b32_e32 v7, v1
.LBB7_82:                               ;   in Loop: Header=BB7_12 Depth=1
	ds_read_b32 v7, v7
	v_lshl_add_u64 v[8:9], v[4:5], 2, s[18:19]
	s_waitcnt lgkmcnt(0)
	global_store_dword v[8:9], v7, off
	s_or_b64 exec, exec, s[42:43]
	s_and_saveexec_b64 s[42:43], s[36:37]
	s_cbranch_execz .LBB7_77
.LBB7_83:                               ;   in Loop: Header=BB7_12 Depth=1
	s_and_b64 vcc, exec, s[0:1]
	s_cbranch_vccnz .LBB7_94
; %bb.84:                               ;   in Loop: Header=BB7_12 Depth=1
	v_add_u32_e32 v4, s23, v19
	v_mad_u64_u32 v[8:9], s[44:45], v4, s11, v[0:1]
	v_mov_b32_e32 v4, v8
	v_mov_b32_e32 v7, v20
	s_cbranch_execnz .LBB7_86
.LBB7_85:                               ;   in Loop: Header=BB7_12 Depth=1
	v_add_u32_e32 v4, v6, v19
	v_mov_b32_e32 v7, v3
.LBB7_86:                               ;   in Loop: Header=BB7_12 Depth=1
	ds_read_b32 v7, v7
	v_lshl_add_u64 v[8:9], v[4:5], 2, s[18:19]
	s_waitcnt lgkmcnt(0)
	global_store_dword v[8:9], v7, off
	s_or_b64 exec, exec, s[42:43]
	s_and_saveexec_b64 s[42:43], s[38:39]
	s_cbranch_execz .LBB7_78
.LBB7_87:                               ;   in Loop: Header=BB7_12 Depth=1
	s_and_b64 vcc, exec, s[0:1]
	s_cbranch_vccnz .LBB7_95
; %bb.88:                               ;   in Loop: Header=BB7_12 Depth=1
	v_add_u32_e32 v4, s23, v21
	v_mad_u64_u32 v[8:9], s[44:45], v4, s11, v[0:1]
	v_mov_b32_e32 v4, v8
	v_mov_b32_e32 v7, v22
	s_cbranch_execnz .LBB7_90
.LBB7_89:                               ;   in Loop: Header=BB7_12 Depth=1
	v_add_u32_e32 v4, v6, v21
	v_mov_b32_e32 v7, v16
.LBB7_90:                               ;   in Loop: Header=BB7_12 Depth=1
	ds_read_b32 v7, v7
	v_lshl_add_u64 v[8:9], v[4:5], 2, s[18:19]
	s_waitcnt lgkmcnt(0)
	global_store_dword v[8:9], v7, off
	s_or_b64 exec, exec, s[42:43]
	s_and_saveexec_b64 s[42:43], s[40:41]
	s_cbranch_execz .LBB7_10
.LBB7_91:                               ;   in Loop: Header=BB7_12 Depth=1
	s_and_b64 vcc, exec, s[0:1]
	s_cbranch_vccnz .LBB7_96
; %bb.92:                               ;   in Loop: Header=BB7_12 Depth=1
	v_add_u32_e32 v4, s23, v23
	v_mad_u64_u32 v[8:9], s[44:45], v4, s11, v[0:1]
	v_mov_b32_e32 v4, v8
	v_mov_b32_e32 v7, v24
	s_cbranch_execnz .LBB7_9
	s_branch .LBB7_97
.LBB7_93:                               ;   in Loop: Header=BB7_12 Depth=1
	v_mov_b32_e32 v7, v18
	s_branch .LBB7_81
.LBB7_94:                               ;   in Loop: Header=BB7_12 Depth=1
	v_mov_b32_e32 v7, v20
	s_branch .LBB7_85
.LBB7_95:                               ;   in Loop: Header=BB7_12 Depth=1
	v_mov_b32_e32 v7, v22
	s_branch .LBB7_89
.LBB7_96:                               ;   in Loop: Header=BB7_12 Depth=1
	v_mov_b32_e32 v7, v24
.LBB7_97:                               ;   in Loop: Header=BB7_12 Depth=1
	v_add_u32_e32 v4, v6, v23
	v_mov_b32_e32 v7, v17
	s_branch .LBB7_9
.LBB7_98:
	s_endpgm
	.section	.rodata,"a",@progbits
	.p2align	6, 0x0
	.amdhsa_kernel _ZN9rocsparseL39bsrgeam_block_per_row_multipass_kernel2ILj256ELj32EfEEv20rocsparse_direction_iiiNS_24const_host_device_scalarIT1_EEPKiS6_PKS3_S4_S6_S6_S8_S6_PiPS3_21rocsparse_index_base_SB_SB_b
		.amdhsa_group_segment_fixed_size 4100
		.amdhsa_private_segment_fixed_size 0
		.amdhsa_kernarg_size 120
		.amdhsa_user_sgpr_count 2
		.amdhsa_user_sgpr_dispatch_ptr 0
		.amdhsa_user_sgpr_queue_ptr 0
		.amdhsa_user_sgpr_kernarg_segment_ptr 1
		.amdhsa_user_sgpr_dispatch_id 0
		.amdhsa_user_sgpr_kernarg_preload_length 0
		.amdhsa_user_sgpr_kernarg_preload_offset 0
		.amdhsa_user_sgpr_private_segment_size 0
		.amdhsa_uses_dynamic_stack 0
		.amdhsa_enable_private_segment 0
		.amdhsa_system_sgpr_workgroup_id_x 1
		.amdhsa_system_sgpr_workgroup_id_y 0
		.amdhsa_system_sgpr_workgroup_id_z 0
		.amdhsa_system_sgpr_workgroup_info 0
		.amdhsa_system_vgpr_workitem_id 0
		.amdhsa_next_free_vgpr 28
		.amdhsa_next_free_sgpr 49
		.amdhsa_accum_offset 28
		.amdhsa_reserve_vcc 1
		.amdhsa_float_round_mode_32 0
		.amdhsa_float_round_mode_16_64 0
		.amdhsa_float_denorm_mode_32 3
		.amdhsa_float_denorm_mode_16_64 3
		.amdhsa_dx10_clamp 1
		.amdhsa_ieee_mode 1
		.amdhsa_fp16_overflow 0
		.amdhsa_tg_split 0
		.amdhsa_exception_fp_ieee_invalid_op 0
		.amdhsa_exception_fp_denorm_src 0
		.amdhsa_exception_fp_ieee_div_zero 0
		.amdhsa_exception_fp_ieee_overflow 0
		.amdhsa_exception_fp_ieee_underflow 0
		.amdhsa_exception_fp_ieee_inexact 0
		.amdhsa_exception_int_div_zero 0
	.end_amdhsa_kernel
	.section	.text._ZN9rocsparseL39bsrgeam_block_per_row_multipass_kernel2ILj256ELj32EfEEv20rocsparse_direction_iiiNS_24const_host_device_scalarIT1_EEPKiS6_PKS3_S4_S6_S6_S8_S6_PiPS3_21rocsparse_index_base_SB_SB_b,"axG",@progbits,_ZN9rocsparseL39bsrgeam_block_per_row_multipass_kernel2ILj256ELj32EfEEv20rocsparse_direction_iiiNS_24const_host_device_scalarIT1_EEPKiS6_PKS3_S4_S6_S6_S8_S6_PiPS3_21rocsparse_index_base_SB_SB_b,comdat
.Lfunc_end7:
	.size	_ZN9rocsparseL39bsrgeam_block_per_row_multipass_kernel2ILj256ELj32EfEEv20rocsparse_direction_iiiNS_24const_host_device_scalarIT1_EEPKiS6_PKS3_S4_S6_S6_S8_S6_PiPS3_21rocsparse_index_base_SB_SB_b, .Lfunc_end7-_ZN9rocsparseL39bsrgeam_block_per_row_multipass_kernel2ILj256ELj32EfEEv20rocsparse_direction_iiiNS_24const_host_device_scalarIT1_EEPKiS6_PKS3_S4_S6_S6_S8_S6_PiPS3_21rocsparse_index_base_SB_SB_b
                                        ; -- End function
	.set _ZN9rocsparseL39bsrgeam_block_per_row_multipass_kernel2ILj256ELj32EfEEv20rocsparse_direction_iiiNS_24const_host_device_scalarIT1_EEPKiS6_PKS3_S4_S6_S6_S8_S6_PiPS3_21rocsparse_index_base_SB_SB_b.num_vgpr, 28
	.set _ZN9rocsparseL39bsrgeam_block_per_row_multipass_kernel2ILj256ELj32EfEEv20rocsparse_direction_iiiNS_24const_host_device_scalarIT1_EEPKiS6_PKS3_S4_S6_S6_S8_S6_PiPS3_21rocsparse_index_base_SB_SB_b.num_agpr, 0
	.set _ZN9rocsparseL39bsrgeam_block_per_row_multipass_kernel2ILj256ELj32EfEEv20rocsparse_direction_iiiNS_24const_host_device_scalarIT1_EEPKiS6_PKS3_S4_S6_S6_S8_S6_PiPS3_21rocsparse_index_base_SB_SB_b.numbered_sgpr, 49
	.set _ZN9rocsparseL39bsrgeam_block_per_row_multipass_kernel2ILj256ELj32EfEEv20rocsparse_direction_iiiNS_24const_host_device_scalarIT1_EEPKiS6_PKS3_S4_S6_S6_S8_S6_PiPS3_21rocsparse_index_base_SB_SB_b.num_named_barrier, 0
	.set _ZN9rocsparseL39bsrgeam_block_per_row_multipass_kernel2ILj256ELj32EfEEv20rocsparse_direction_iiiNS_24const_host_device_scalarIT1_EEPKiS6_PKS3_S4_S6_S6_S8_S6_PiPS3_21rocsparse_index_base_SB_SB_b.private_seg_size, 0
	.set _ZN9rocsparseL39bsrgeam_block_per_row_multipass_kernel2ILj256ELj32EfEEv20rocsparse_direction_iiiNS_24const_host_device_scalarIT1_EEPKiS6_PKS3_S4_S6_S6_S8_S6_PiPS3_21rocsparse_index_base_SB_SB_b.uses_vcc, 1
	.set _ZN9rocsparseL39bsrgeam_block_per_row_multipass_kernel2ILj256ELj32EfEEv20rocsparse_direction_iiiNS_24const_host_device_scalarIT1_EEPKiS6_PKS3_S4_S6_S6_S8_S6_PiPS3_21rocsparse_index_base_SB_SB_b.uses_flat_scratch, 0
	.set _ZN9rocsparseL39bsrgeam_block_per_row_multipass_kernel2ILj256ELj32EfEEv20rocsparse_direction_iiiNS_24const_host_device_scalarIT1_EEPKiS6_PKS3_S4_S6_S6_S8_S6_PiPS3_21rocsparse_index_base_SB_SB_b.has_dyn_sized_stack, 0
	.set _ZN9rocsparseL39bsrgeam_block_per_row_multipass_kernel2ILj256ELj32EfEEv20rocsparse_direction_iiiNS_24const_host_device_scalarIT1_EEPKiS6_PKS3_S4_S6_S6_S8_S6_PiPS3_21rocsparse_index_base_SB_SB_b.has_recursion, 0
	.set _ZN9rocsparseL39bsrgeam_block_per_row_multipass_kernel2ILj256ELj32EfEEv20rocsparse_direction_iiiNS_24const_host_device_scalarIT1_EEPKiS6_PKS3_S4_S6_S6_S8_S6_PiPS3_21rocsparse_index_base_SB_SB_b.has_indirect_call, 0
	.section	.AMDGPU.csdata,"",@progbits
; Kernel info:
; codeLenInByte = 2424
; TotalNumSgprs: 55
; NumVgprs: 28
; NumAgprs: 0
; TotalNumVgprs: 28
; ScratchSize: 0
; MemoryBound: 0
; FloatMode: 240
; IeeeMode: 1
; LDSByteSize: 4100 bytes/workgroup (compile time only)
; SGPRBlocks: 6
; VGPRBlocks: 3
; NumSGPRsForWavesPerEU: 55
; NumVGPRsForWavesPerEU: 28
; AccumOffset: 28
; Occupancy: 8
; WaveLimiterHint : 1
; COMPUTE_PGM_RSRC2:SCRATCH_EN: 0
; COMPUTE_PGM_RSRC2:USER_SGPR: 2
; COMPUTE_PGM_RSRC2:TRAP_HANDLER: 0
; COMPUTE_PGM_RSRC2:TGID_X_EN: 1
; COMPUTE_PGM_RSRC2:TGID_Y_EN: 0
; COMPUTE_PGM_RSRC2:TGID_Z_EN: 0
; COMPUTE_PGM_RSRC2:TIDIG_COMP_CNT: 0
; COMPUTE_PGM_RSRC3_GFX90A:ACCUM_OFFSET: 6
; COMPUTE_PGM_RSRC3_GFX90A:TG_SPLIT: 0
	.section	.text._ZN9rocsparseL39bsrgeam_wf_per_row_multipass_2_3_kernelILj256ELj2ELj32EdEEv20rocsparse_direction_iiiNS_24const_host_device_scalarIT2_EEPKiS6_PKS3_S4_S6_S6_S8_S6_PiPS3_21rocsparse_index_base_SB_SB_b,"axG",@progbits,_ZN9rocsparseL39bsrgeam_wf_per_row_multipass_2_3_kernelILj256ELj2ELj32EdEEv20rocsparse_direction_iiiNS_24const_host_device_scalarIT2_EEPKiS6_PKS3_S4_S6_S6_S8_S6_PiPS3_21rocsparse_index_base_SB_SB_b,comdat
	.globl	_ZN9rocsparseL39bsrgeam_wf_per_row_multipass_2_3_kernelILj256ELj2ELj32EdEEv20rocsparse_direction_iiiNS_24const_host_device_scalarIT2_EEPKiS6_PKS3_S4_S6_S6_S8_S6_PiPS3_21rocsparse_index_base_SB_SB_b ; -- Begin function _ZN9rocsparseL39bsrgeam_wf_per_row_multipass_2_3_kernelILj256ELj2ELj32EdEEv20rocsparse_direction_iiiNS_24const_host_device_scalarIT2_EEPKiS6_PKS3_S4_S6_S6_S8_S6_PiPS3_21rocsparse_index_base_SB_SB_b
	.p2align	8
	.type	_ZN9rocsparseL39bsrgeam_wf_per_row_multipass_2_3_kernelILj256ELj2ELj32EdEEv20rocsparse_direction_iiiNS_24const_host_device_scalarIT2_EEPKiS6_PKS3_S4_S6_S6_S8_S6_PiPS3_21rocsparse_index_base_SB_SB_b,@function
_ZN9rocsparseL39bsrgeam_wf_per_row_multipass_2_3_kernelILj256ELj2ELj32EdEEv20rocsparse_direction_iiiNS_24const_host_device_scalarIT2_EEPKiS6_PKS3_S4_S6_S6_S8_S6_PiPS3_21rocsparse_index_base_SB_SB_b: ; @_ZN9rocsparseL39bsrgeam_wf_per_row_multipass_2_3_kernelILj256ELj2ELj32EdEEv20rocsparse_direction_iiiNS_24const_host_device_scalarIT2_EEPKiS6_PKS3_S4_S6_S6_S8_S6_PiPS3_21rocsparse_index_base_SB_SB_b
; %bb.0:
	s_load_dwordx4 s[4:7], s[0:1], 0x68
	s_load_dwordx2 s[12:13], s[0:1], 0x10
	s_load_dwordx2 s[8:9], s[0:1], 0x30
	s_waitcnt lgkmcnt(0)
	s_bitcmp1_b32 s7, 0
	s_cselect_b64 s[14:15], -1, 0
	s_xor_b64 s[10:11], s[14:15], -1
	s_and_b64 vcc, exec, s[14:15]
	v_mov_b64_e32 v[4:5], s[12:13]
	s_cbranch_vccnz .LBB8_2
; %bb.1:
	v_mov_b64_e32 v[2:3], s[12:13]
	flat_load_dwordx2 v[4:5], v[2:3]
.LBB8_2:
	s_andn2_b64 vcc, exec, s[10:11]
	v_mov_b64_e32 v[6:7], s[8:9]
	s_cbranch_vccnz .LBB8_4
; %bb.3:
	v_mov_b64_e32 v[2:3], s[8:9]
	flat_load_dwordx2 v[6:7], v[2:3]
.LBB8_4:
	s_load_dwordx4 s[8:11], s[0:1], 0x0
	s_lshl_b32 s2, s2, 3
	v_lshrrev_b32_e32 v1, 5, v0
	s_and_b32 s2, s2, 0x7fffff8
	v_or_b32_e32 v2, s2, v1
	s_waitcnt lgkmcnt(0)
	v_cmp_gt_i32_e32 vcc, s9, v2
	s_and_saveexec_b64 s[2:3], vcc
	s_cbranch_execz .LBB8_39
; %bb.5:
	s_load_dwordx4 s[12:15], s[0:1], 0x18
	s_load_dwordx4 s[16:19], s[0:1], 0x38
	s_load_dwordx2 s[2:3], s[0:1], 0x50
	v_lshlrev_b32_e32 v10, 2, v2
	s_waitcnt lgkmcnt(0)
	global_load_dwordx2 v[2:3], v10, s[12:13]
	global_load_dwordx2 v[8:9], v10, s[16:17]
	global_load_dword v14, v10, s[2:3]
	s_waitcnt vmcnt(0)
	v_subrev_u32_e32 v10, s4, v2
	v_cmp_lt_i32_e32 vcc, v2, v3
	v_mov_b32_e32 v2, s10
	s_and_saveexec_b64 s[2:3], vcc
	s_cbranch_execz .LBB8_7
; %bb.6:
	v_ashrrev_i32_e32 v11, 31, v10
	v_lshl_add_u64 v[12:13], v[10:11], 2, s[14:15]
	global_load_dword v2, v[12:13], off
	s_waitcnt vmcnt(0)
	v_subrev_u32_e32 v2, s4, v2
.LBB8_7:
	s_or_b64 exec, exec, s[2:3]
	s_load_dwordx4 s[20:23], s[0:1], 0x58
	s_load_dwordx2 s[12:13], s[0:1], 0x28
	s_load_dwordx2 s[16:17], s[0:1], 0x48
	v_subrev_u32_e32 v12, s5, v8
	v_cmp_lt_i32_e32 vcc, v8, v9
	v_mov_b32_e32 v8, s10
	s_and_saveexec_b64 s[0:1], vcc
	s_cbranch_execz .LBB8_9
; %bb.8:
	v_ashrrev_i32_e32 v13, 31, v12
	v_lshl_add_u64 v[16:17], v[12:13], 2, s[18:19]
	global_load_dword v8, v[16:17], off
	s_waitcnt vmcnt(0)
	v_subrev_u32_e32 v8, s5, v8
.LBB8_9:
	s_or_b64 exec, exec, s[0:1]
	v_min_i32_e32 v31, v8, v2
	v_mbcnt_lo_u32_b32 v2, -1, 0
	v_mbcnt_hi_u32_b32 v2, -1, v2
	v_and_b32_e32 v11, 0xe0, v0
	v_lshlrev_b32_e32 v17, 10, v1
	v_subrev_u32_e32 v18, s4, v3
	v_and_b32_e32 v1, 31, v0
	v_and_b32_e32 v3, 64, v2
	v_bitop3_b32 v0, v0, 31, v0 bitop3:0xc
	v_add_u32_e32 v3, 64, v3
	v_lshrrev_b32_e64 v22, v0, -1
	v_xor_b32_e32 v0, 16, v2
	v_cmp_lt_i32_e32 vcc, v0, v3
	s_mov_b32 s0, 0
	s_cmp_lg_u32 s8, 0
	v_cndmask_b32_e32 v0, v2, v0, vcc
	v_lshlrev_b32_e32 v24, 2, v0
	v_xor_b32_e32 v0, 8, v2
	v_cmp_lt_i32_e32 vcc, v0, v3
	s_cselect_b64 s[24:25], -1, 0
	s_mov_b32 s2, s0
	v_cndmask_b32_e32 v0, v2, v0, vcc
	v_lshlrev_b32_e32 v25, 2, v0
	v_xor_b32_e32 v0, 4, v2
	v_cmp_lt_i32_e32 vcc, v0, v3
	s_mov_b32 s3, s0
	v_or_b32_e32 v16, 0x2000, v11
	v_cndmask_b32_e32 v0, v2, v0, vcc
	v_lshlrev_b32_e32 v26, 2, v0
	v_xor_b32_e32 v0, 2, v2
	v_cmp_lt_i32_e32 vcc, v0, v3
	s_cmp_eq_u32 s8, 0
	s_mov_b32 s1, s0
	v_cndmask_b32_e32 v0, v2, v0, vcc
	v_lshlrev_b32_e32 v27, 2, v0
	v_xor_b32_e32 v0, 1, v2
	v_cmp_lt_i32_e32 vcc, v0, v3
	v_mov_b64_e32 v[36:37], s[2:3]
	v_subrev_u32_e32 v19, s5, v9
	v_cndmask_b32_e32 v0, v2, v0, vcc
	v_lshlrev_b32_e32 v28, 2, v0
	v_cndmask_b32_e64 v0, 0, 1, s[24:25]
	v_subrev_u32_e32 v20, s6, v14
	v_add_u32_e32 v8, v10, v1
	v_add_u32_e32 v10, v12, v1
	v_lshl_or_b32 v21, v1, 5, v17
	v_add_u32_e32 v23, s6, v1
	s_cselect_b32 s11, 8, 16
	s_cselect_b32 s30, 16, 8
	s_mov_b64 s[6:7], 0
	v_add_u32_e32 v29, v16, v1
	v_mov_b32_e32 v13, 0
	v_mov_b64_e32 v[34:35], s[0:1]
	v_mov_b32_e32 v30, 1
	v_cmp_ne_u32_e64 s[0:1], 1, v0
	s_branch .LBB8_11
.LBB8_10:                               ;   in Loop: Header=BB8_11 Depth=1
	s_or_b64 exec, exec, s[8:9]
	ds_bpermute_b32 v0, v24, v32
	s_bcnt1_i32_b64 s2, vcc
	v_add_u32_e32 v20, s2, v20
	s_waitcnt lgkmcnt(0)
	v_min_i32_e32 v0, v0, v32
	ds_bpermute_b32 v1, v25, v0
	s_waitcnt lgkmcnt(0)
	v_min_i32_e32 v0, v1, v0
	ds_bpermute_b32 v1, v26, v0
	;; [unrolled: 3-line block ×4, first 2 shown]
	s_waitcnt lgkmcnt(0)
	v_min_i32_e32 v31, v1, v0
	v_cmp_le_i32_e32 vcc, s10, v31
	s_or_b64 s[6:7], vcc, s[6:7]
	s_andn2_b64 exec, exec, s[6:7]
	s_cbranch_execz .LBB8_39
.LBB8_11:                               ; =>This Loop Header: Depth=1
                                        ;     Child Loop BB8_14 Depth 2
                                        ;     Child Loop BB8_27 Depth 2
	v_cmp_lt_i32_e32 vcc, v8, v18
	v_mov_b32_e32 v32, s10
	ds_write_b8 v29, v13
	ds_write_b128 v21, v[34:37]
	ds_write_b128 v21, v[34:37] offset:16
	s_waitcnt lgkmcnt(0)
	s_and_saveexec_b64 s[8:9], vcc
	s_cbranch_execz .LBB8_24
; %bb.12:                               ;   in Loop: Header=BB8_11 Depth=1
	v_lshlrev_b32_e32 v12, 2, v8
	s_mov_b64 s[24:25], 0
	v_mov_b32_e32 v32, s10
	s_branch .LBB8_14
.LBB8_13:                               ;   in Loop: Header=BB8_14 Depth=2
	s_or_b64 exec, exec, s[28:29]
	s_and_b64 s[2:3], exec, s[26:27]
	s_or_b64 s[24:25], s[2:3], s[24:25]
	s_andn2_b64 exec, exec, s[24:25]
	s_cbranch_execz .LBB8_23
.LBB8_14:                               ;   Parent Loop BB8_11 Depth=1
                                        ; =>  This Inner Loop Header: Depth=2
	v_ashrrev_i32_e32 v9, 31, v8
	v_lshl_add_u64 v[0:1], v[8:9], 2, s[14:15]
	global_load_dword v0, v[0:1], off
	s_waitcnt vmcnt(0)
	v_subrev_u32_e32 v0, s4, v0
	v_sub_u32_e32 v2, v0, v31
	v_cmp_gt_u32_e64 s[2:3], 32, v2
	v_cmp_lt_u32_e32 vcc, 31, v2
	s_and_saveexec_b64 s[26:27], vcc
	s_xor_b64 s[26:27], exec, s[26:27]
; %bb.15:                               ;   in Loop: Header=BB8_14 Depth=2
	v_min_i32_e32 v32, v0, v32
                                        ; implicit-def: $vgpr2
; %bb.16:                               ;   in Loop: Header=BB8_14 Depth=2
	s_andn2_saveexec_b64 s[26:27], s[26:27]
	s_cbranch_execz .LBB8_21
; %bb.17:                               ;   in Loop: Header=BB8_14 Depth=2
	v_lshl_add_u64 v[0:1], v[12:13], 3, s[12:13]
	global_load_dwordx2 v[14:15], v[0:1], off
	v_add_u32_e32 v3, v16, v2
	v_lshlrev_b32_e32 v2, 5, v2
	s_and_b64 vcc, exec, s[0:1]
	v_add_u32_e32 v2, v17, v2
	s_mov_b64 s[28:29], -1
	ds_write_b8 v3, v30
	s_waitcnt vmcnt(0)
	v_mul_f64 v[14:15], v[4:5], v[14:15]
	ds_write_b64 v2, v[14:15]
	s_cbranch_vccnz .LBB8_19
; %bb.18:                               ;   in Loop: Header=BB8_14 Depth=2
	global_load_dwordx4 v[38:41], v[0:1], off offset:8
	global_load_dwordx2 v[14:15], v[0:1], off offset:24
	s_mov_b64 s[28:29], 0
	s_waitcnt vmcnt(1)
	v_mul_f64 v[40:41], v[4:5], v[40:41]
	v_mul_f64 v[38:39], v[4:5], v[38:39]
	s_waitcnt vmcnt(0)
	v_mul_f64 v[14:15], v[4:5], v[14:15]
	ds_write2_b64 v2, v[40:41], v[38:39] offset0:1 offset1:2
	ds_write_b64 v2, v[14:15] offset:24
.LBB8_19:                               ;   in Loop: Header=BB8_14 Depth=2
	s_andn2_b64 vcc, exec, s[28:29]
	s_cbranch_vccnz .LBB8_21
; %bb.20:                               ;   in Loop: Header=BB8_14 Depth=2
	global_load_dwordx4 v[38:41], v[0:1], off offset:8
	global_load_dwordx2 v[14:15], v[0:1], off offset:24
	s_waitcnt vmcnt(1)
	v_mul_f64 v[0:1], v[4:5], v[38:39]
	v_mul_f64 v[38:39], v[4:5], v[40:41]
	s_waitcnt vmcnt(0)
	v_mul_f64 v[14:15], v[4:5], v[14:15]
	ds_write2_b64 v2, v[0:1], v[38:39] offset0:1 offset1:2
	ds_write_b64 v2, v[14:15] offset:24
.LBB8_21:                               ;   in Loop: Header=BB8_14 Depth=2
	s_or_b64 exec, exec, s[26:27]
	s_mov_b64 s[26:27], -1
	s_and_saveexec_b64 s[28:29], s[2:3]
	s_cbranch_execz .LBB8_13
; %bb.22:                               ;   in Loop: Header=BB8_14 Depth=2
	v_add_u32_e32 v8, 32, v8
	v_cmp_ge_i32_e32 vcc, v8, v18
	v_add_u32_e32 v12, 0x80, v12
	s_orn2_b64 s[26:27], vcc, exec
	s_branch .LBB8_13
.LBB8_23:                               ;   in Loop: Header=BB8_11 Depth=1
	s_or_b64 exec, exec, s[24:25]
.LBB8_24:                               ;   in Loop: Header=BB8_11 Depth=1
	s_or_b64 exec, exec, s[8:9]
	v_cmp_lt_i32_e32 vcc, v10, v19
	s_waitcnt lgkmcnt(0)
	s_and_saveexec_b64 s[8:9], vcc
	s_cbranch_execz .LBB8_37
; %bb.25:                               ;   in Loop: Header=BB8_11 Depth=1
	v_lshlrev_b32_e32 v12, 2, v10
	s_mov_b64 s[24:25], 0
	s_branch .LBB8_27
.LBB8_26:                               ;   in Loop: Header=BB8_27 Depth=2
	s_or_b64 exec, exec, s[28:29]
	s_and_b64 s[2:3], exec, s[26:27]
	s_or_b64 s[24:25], s[2:3], s[24:25]
	s_andn2_b64 exec, exec, s[24:25]
	s_cbranch_execz .LBB8_36
.LBB8_27:                               ;   Parent Loop BB8_11 Depth=1
                                        ; =>  This Inner Loop Header: Depth=2
	v_ashrrev_i32_e32 v11, 31, v10
	v_lshl_add_u64 v[0:1], v[10:11], 2, s[18:19]
	global_load_dword v0, v[0:1], off
	s_waitcnt vmcnt(0)
	v_subrev_u32_e32 v0, s5, v0
	v_sub_u32_e32 v11, v0, v31
	v_cmp_gt_u32_e64 s[2:3], 32, v11
	v_cmp_lt_u32_e32 vcc, 31, v11
	s_and_saveexec_b64 s[26:27], vcc
	s_xor_b64 s[26:27], exec, s[26:27]
; %bb.28:                               ;   in Loop: Header=BB8_27 Depth=2
	v_min_i32_e32 v32, v0, v32
                                        ; implicit-def: $vgpr11
; %bb.29:                               ;   in Loop: Header=BB8_27 Depth=2
	s_andn2_saveexec_b64 s[26:27], s[26:27]
	s_cbranch_execz .LBB8_34
; %bb.30:                               ;   in Loop: Header=BB8_27 Depth=2
	v_lshl_add_u64 v[14:15], v[12:13], 3, s[16:17]
	global_load_dwordx2 v[38:39], v[14:15], off
	v_lshlrev_b32_e32 v0, 5, v11
	v_add_u32_e32 v9, v17, v0
	ds_read_b128 v[0:3], v9
	v_add_u32_e32 v11, v16, v11
	s_and_b64 vcc, exec, s[0:1]
	s_mov_b64 s[28:29], -1
	ds_write_b8 v11, v30
	s_waitcnt vmcnt(0) lgkmcnt(1)
	v_fmac_f64_e32 v[0:1], v[6:7], v[38:39]
	ds_write_b64 v9, v[0:1]
	s_cbranch_vccnz .LBB8_32
; %bb.31:                               ;   in Loop: Header=BB8_27 Depth=2
	global_load_dwordx4 v[38:41], v[14:15], off offset:8
	global_load_dwordx2 v[0:1], v[14:15], off offset:24
	ds_read_b128 v[42:45], v9 offset:16
	s_mov_b64 s[28:29], 0
	s_waitcnt vmcnt(1) lgkmcnt(0)
	v_fmac_f64_e32 v[42:43], v[6:7], v[38:39]
	s_waitcnt vmcnt(0)
	v_fmac_f64_e32 v[44:45], v[6:7], v[0:1]
	v_fma_f64 v[40:41], v[6:7], v[40:41], v[2:3]
	v_mov_b32_e32 v0, v42
	v_mov_b32_e32 v1, v43
	ds_write_b64 v9, v[44:45] offset:24
	ds_write2_b64 v9, v[40:41], v[0:1] offset0:1 offset1:2
.LBB8_32:                               ;   in Loop: Header=BB8_27 Depth=2
	s_andn2_b64 vcc, exec, s[28:29]
	s_cbranch_vccnz .LBB8_34
; %bb.33:                               ;   in Loop: Header=BB8_27 Depth=2
	global_load_dwordx4 v[38:41], v[14:15], off offset:8
	global_load_dwordx2 v[0:1], v[14:15], off offset:24
	ds_read_b128 v[42:45], v9 offset:16
	s_waitcnt vmcnt(1)
	v_fmac_f64_e32 v[2:3], v[6:7], v[38:39]
	s_waitcnt lgkmcnt(0)
	v_fmac_f64_e32 v[42:43], v[6:7], v[40:41]
	s_waitcnt vmcnt(0)
	v_fmac_f64_e32 v[44:45], v[6:7], v[0:1]
	v_mov_b32_e32 v0, v2
	v_mov_b32_e32 v1, v3
	;; [unrolled: 1-line block ×4, first 2 shown]
	ds_write2_b64 v9, v[0:1], v[2:3] offset0:1 offset1:2
	ds_write_b64 v9, v[44:45] offset:24
.LBB8_34:                               ;   in Loop: Header=BB8_27 Depth=2
	s_or_b64 exec, exec, s[26:27]
	s_mov_b64 s[26:27], -1
	s_and_saveexec_b64 s[28:29], s[2:3]
	s_cbranch_execz .LBB8_26
; %bb.35:                               ;   in Loop: Header=BB8_27 Depth=2
	v_add_u32_e32 v10, 32, v10
	v_cmp_ge_i32_e32 vcc, v10, v19
	v_add_u32_e32 v12, 0x80, v12
	s_orn2_b64 s[26:27], vcc, exec
	s_branch .LBB8_26
.LBB8_36:                               ;   in Loop: Header=BB8_11 Depth=1
	s_or_b64 exec, exec, s[24:25]
.LBB8_37:                               ;   in Loop: Header=BB8_11 Depth=1
	s_or_b64 exec, exec, s[8:9]
	s_waitcnt lgkmcnt(0)
	ds_read_u8 v0, v29
	s_waitcnt lgkmcnt(0)
	v_and_b32_e32 v1, 1, v0
	v_cmp_eq_u32_e64 s[2:3], 1, v1
	v_cmp_ne_u16_e32 vcc, 0, v0
	s_and_saveexec_b64 s[8:9], s[2:3]
	s_cbranch_execz .LBB8_10
; %bb.38:                               ;   in Loop: Header=BB8_11 Depth=1
	v_and_b32_e32 v0, vcc_lo, v22
	ds_read2_b64 v[38:41], v21 offset1:3
	v_bcnt_u32_b32 v0, v0, 0
	v_add3_u32 v0, v20, v0, -1
	v_ashrrev_i32_e32 v1, 31, v0
	v_lshl_add_u64 v[2:3], v[0:1], 2, s[20:21]
	v_add_u32_e32 v1, s11, v21
	s_waitcnt lgkmcnt(0)
	v_mov_b32_e32 v42, v38
	v_mov_b32_e32 v43, v39
	v_add_u32_e32 v11, s30, v21
	ds_read_b64 v[44:45], v1
	ds_read_b64 v[38:39], v11
	v_lshlrev_b32_e32 v12, 2, v0
	v_add_u32_e32 v9, v23, v31
	v_lshl_add_u64 v[0:1], v[12:13], 3, s[22:23]
	global_store_dword v[2:3], v9, off
	s_waitcnt lgkmcnt(1)
	global_store_dwordx4 v[0:1], v[42:45], off
	s_waitcnt lgkmcnt(0)
	global_store_dwordx4 v[0:1], v[38:41], off offset:16
	s_branch .LBB8_10
.LBB8_39:
	s_endpgm
	.section	.rodata,"a",@progbits
	.p2align	6, 0x0
	.amdhsa_kernel _ZN9rocsparseL39bsrgeam_wf_per_row_multipass_2_3_kernelILj256ELj2ELj32EdEEv20rocsparse_direction_iiiNS_24const_host_device_scalarIT2_EEPKiS6_PKS3_S4_S6_S6_S8_S6_PiPS3_21rocsparse_index_base_SB_SB_b
		.amdhsa_group_segment_fixed_size 8448
		.amdhsa_private_segment_fixed_size 0
		.amdhsa_kernarg_size 120
		.amdhsa_user_sgpr_count 2
		.amdhsa_user_sgpr_dispatch_ptr 0
		.amdhsa_user_sgpr_queue_ptr 0
		.amdhsa_user_sgpr_kernarg_segment_ptr 1
		.amdhsa_user_sgpr_dispatch_id 0
		.amdhsa_user_sgpr_kernarg_preload_length 0
		.amdhsa_user_sgpr_kernarg_preload_offset 0
		.amdhsa_user_sgpr_private_segment_size 0
		.amdhsa_uses_dynamic_stack 0
		.amdhsa_enable_private_segment 0
		.amdhsa_system_sgpr_workgroup_id_x 1
		.amdhsa_system_sgpr_workgroup_id_y 0
		.amdhsa_system_sgpr_workgroup_id_z 0
		.amdhsa_system_sgpr_workgroup_info 0
		.amdhsa_system_vgpr_workitem_id 0
		.amdhsa_next_free_vgpr 46
		.amdhsa_next_free_sgpr 31
		.amdhsa_accum_offset 48
		.amdhsa_reserve_vcc 1
		.amdhsa_float_round_mode_32 0
		.amdhsa_float_round_mode_16_64 0
		.amdhsa_float_denorm_mode_32 3
		.amdhsa_float_denorm_mode_16_64 3
		.amdhsa_dx10_clamp 1
		.amdhsa_ieee_mode 1
		.amdhsa_fp16_overflow 0
		.amdhsa_tg_split 0
		.amdhsa_exception_fp_ieee_invalid_op 0
		.amdhsa_exception_fp_denorm_src 0
		.amdhsa_exception_fp_ieee_div_zero 0
		.amdhsa_exception_fp_ieee_overflow 0
		.amdhsa_exception_fp_ieee_underflow 0
		.amdhsa_exception_fp_ieee_inexact 0
		.amdhsa_exception_int_div_zero 0
	.end_amdhsa_kernel
	.section	.text._ZN9rocsparseL39bsrgeam_wf_per_row_multipass_2_3_kernelILj256ELj2ELj32EdEEv20rocsparse_direction_iiiNS_24const_host_device_scalarIT2_EEPKiS6_PKS3_S4_S6_S6_S8_S6_PiPS3_21rocsparse_index_base_SB_SB_b,"axG",@progbits,_ZN9rocsparseL39bsrgeam_wf_per_row_multipass_2_3_kernelILj256ELj2ELj32EdEEv20rocsparse_direction_iiiNS_24const_host_device_scalarIT2_EEPKiS6_PKS3_S4_S6_S6_S8_S6_PiPS3_21rocsparse_index_base_SB_SB_b,comdat
.Lfunc_end8:
	.size	_ZN9rocsparseL39bsrgeam_wf_per_row_multipass_2_3_kernelILj256ELj2ELj32EdEEv20rocsparse_direction_iiiNS_24const_host_device_scalarIT2_EEPKiS6_PKS3_S4_S6_S6_S8_S6_PiPS3_21rocsparse_index_base_SB_SB_b, .Lfunc_end8-_ZN9rocsparseL39bsrgeam_wf_per_row_multipass_2_3_kernelILj256ELj2ELj32EdEEv20rocsparse_direction_iiiNS_24const_host_device_scalarIT2_EEPKiS6_PKS3_S4_S6_S6_S8_S6_PiPS3_21rocsparse_index_base_SB_SB_b
                                        ; -- End function
	.set _ZN9rocsparseL39bsrgeam_wf_per_row_multipass_2_3_kernelILj256ELj2ELj32EdEEv20rocsparse_direction_iiiNS_24const_host_device_scalarIT2_EEPKiS6_PKS3_S4_S6_S6_S8_S6_PiPS3_21rocsparse_index_base_SB_SB_b.num_vgpr, 46
	.set _ZN9rocsparseL39bsrgeam_wf_per_row_multipass_2_3_kernelILj256ELj2ELj32EdEEv20rocsparse_direction_iiiNS_24const_host_device_scalarIT2_EEPKiS6_PKS3_S4_S6_S6_S8_S6_PiPS3_21rocsparse_index_base_SB_SB_b.num_agpr, 0
	.set _ZN9rocsparseL39bsrgeam_wf_per_row_multipass_2_3_kernelILj256ELj2ELj32EdEEv20rocsparse_direction_iiiNS_24const_host_device_scalarIT2_EEPKiS6_PKS3_S4_S6_S6_S8_S6_PiPS3_21rocsparse_index_base_SB_SB_b.numbered_sgpr, 31
	.set _ZN9rocsparseL39bsrgeam_wf_per_row_multipass_2_3_kernelILj256ELj2ELj32EdEEv20rocsparse_direction_iiiNS_24const_host_device_scalarIT2_EEPKiS6_PKS3_S4_S6_S6_S8_S6_PiPS3_21rocsparse_index_base_SB_SB_b.num_named_barrier, 0
	.set _ZN9rocsparseL39bsrgeam_wf_per_row_multipass_2_3_kernelILj256ELj2ELj32EdEEv20rocsparse_direction_iiiNS_24const_host_device_scalarIT2_EEPKiS6_PKS3_S4_S6_S6_S8_S6_PiPS3_21rocsparse_index_base_SB_SB_b.private_seg_size, 0
	.set _ZN9rocsparseL39bsrgeam_wf_per_row_multipass_2_3_kernelILj256ELj2ELj32EdEEv20rocsparse_direction_iiiNS_24const_host_device_scalarIT2_EEPKiS6_PKS3_S4_S6_S6_S8_S6_PiPS3_21rocsparse_index_base_SB_SB_b.uses_vcc, 1
	.set _ZN9rocsparseL39bsrgeam_wf_per_row_multipass_2_3_kernelILj256ELj2ELj32EdEEv20rocsparse_direction_iiiNS_24const_host_device_scalarIT2_EEPKiS6_PKS3_S4_S6_S6_S8_S6_PiPS3_21rocsparse_index_base_SB_SB_b.uses_flat_scratch, 0
	.set _ZN9rocsparseL39bsrgeam_wf_per_row_multipass_2_3_kernelILj256ELj2ELj32EdEEv20rocsparse_direction_iiiNS_24const_host_device_scalarIT2_EEPKiS6_PKS3_S4_S6_S6_S8_S6_PiPS3_21rocsparse_index_base_SB_SB_b.has_dyn_sized_stack, 0
	.set _ZN9rocsparseL39bsrgeam_wf_per_row_multipass_2_3_kernelILj256ELj2ELj32EdEEv20rocsparse_direction_iiiNS_24const_host_device_scalarIT2_EEPKiS6_PKS3_S4_S6_S6_S8_S6_PiPS3_21rocsparse_index_base_SB_SB_b.has_recursion, 0
	.set _ZN9rocsparseL39bsrgeam_wf_per_row_multipass_2_3_kernelILj256ELj2ELj32EdEEv20rocsparse_direction_iiiNS_24const_host_device_scalarIT2_EEPKiS6_PKS3_S4_S6_S6_S8_S6_PiPS3_21rocsparse_index_base_SB_SB_b.has_indirect_call, 0
	.section	.AMDGPU.csdata,"",@progbits
; Kernel info:
; codeLenInByte = 1656
; TotalNumSgprs: 37
; NumVgprs: 46
; NumAgprs: 0
; TotalNumVgprs: 46
; ScratchSize: 0
; MemoryBound: 0
; FloatMode: 240
; IeeeMode: 1
; LDSByteSize: 8448 bytes/workgroup (compile time only)
; SGPRBlocks: 4
; VGPRBlocks: 5
; NumSGPRsForWavesPerEU: 37
; NumVGPRsForWavesPerEU: 46
; AccumOffset: 48
; Occupancy: 8
; WaveLimiterHint : 1
; COMPUTE_PGM_RSRC2:SCRATCH_EN: 0
; COMPUTE_PGM_RSRC2:USER_SGPR: 2
; COMPUTE_PGM_RSRC2:TRAP_HANDLER: 0
; COMPUTE_PGM_RSRC2:TGID_X_EN: 1
; COMPUTE_PGM_RSRC2:TGID_Y_EN: 0
; COMPUTE_PGM_RSRC2:TGID_Z_EN: 0
; COMPUTE_PGM_RSRC2:TIDIG_COMP_CNT: 0
; COMPUTE_PGM_RSRC3_GFX90A:ACCUM_OFFSET: 11
; COMPUTE_PGM_RSRC3_GFX90A:TG_SPLIT: 0
	.section	.text._ZN9rocsparseL39bsrgeam_wf_per_row_multipass_2_3_kernelILj256ELj2ELj64EdEEv20rocsparse_direction_iiiNS_24const_host_device_scalarIT2_EEPKiS6_PKS3_S4_S6_S6_S8_S6_PiPS3_21rocsparse_index_base_SB_SB_b,"axG",@progbits,_ZN9rocsparseL39bsrgeam_wf_per_row_multipass_2_3_kernelILj256ELj2ELj64EdEEv20rocsparse_direction_iiiNS_24const_host_device_scalarIT2_EEPKiS6_PKS3_S4_S6_S6_S8_S6_PiPS3_21rocsparse_index_base_SB_SB_b,comdat
	.globl	_ZN9rocsparseL39bsrgeam_wf_per_row_multipass_2_3_kernelILj256ELj2ELj64EdEEv20rocsparse_direction_iiiNS_24const_host_device_scalarIT2_EEPKiS6_PKS3_S4_S6_S6_S8_S6_PiPS3_21rocsparse_index_base_SB_SB_b ; -- Begin function _ZN9rocsparseL39bsrgeam_wf_per_row_multipass_2_3_kernelILj256ELj2ELj64EdEEv20rocsparse_direction_iiiNS_24const_host_device_scalarIT2_EEPKiS6_PKS3_S4_S6_S6_S8_S6_PiPS3_21rocsparse_index_base_SB_SB_b
	.p2align	8
	.type	_ZN9rocsparseL39bsrgeam_wf_per_row_multipass_2_3_kernelILj256ELj2ELj64EdEEv20rocsparse_direction_iiiNS_24const_host_device_scalarIT2_EEPKiS6_PKS3_S4_S6_S6_S8_S6_PiPS3_21rocsparse_index_base_SB_SB_b,@function
_ZN9rocsparseL39bsrgeam_wf_per_row_multipass_2_3_kernelILj256ELj2ELj64EdEEv20rocsparse_direction_iiiNS_24const_host_device_scalarIT2_EEPKiS6_PKS3_S4_S6_S6_S8_S6_PiPS3_21rocsparse_index_base_SB_SB_b: ; @_ZN9rocsparseL39bsrgeam_wf_per_row_multipass_2_3_kernelILj256ELj2ELj64EdEEv20rocsparse_direction_iiiNS_24const_host_device_scalarIT2_EEPKiS6_PKS3_S4_S6_S6_S8_S6_PiPS3_21rocsparse_index_base_SB_SB_b
; %bb.0:
	s_load_dwordx4 s[4:7], s[0:1], 0x68
	s_load_dwordx2 s[12:13], s[0:1], 0x10
	s_load_dwordx2 s[8:9], s[0:1], 0x30
	s_waitcnt lgkmcnt(0)
	s_bitcmp1_b32 s7, 0
	s_cselect_b64 s[14:15], -1, 0
	s_xor_b64 s[10:11], s[14:15], -1
	s_and_b64 vcc, exec, s[14:15]
	v_mov_b64_e32 v[4:5], s[12:13]
	s_cbranch_vccnz .LBB9_2
; %bb.1:
	v_mov_b64_e32 v[2:3], s[12:13]
	flat_load_dwordx2 v[4:5], v[2:3]
.LBB9_2:
	s_andn2_b64 vcc, exec, s[10:11]
	v_mov_b64_e32 v[6:7], s[8:9]
	s_cbranch_vccnz .LBB9_4
; %bb.3:
	v_mov_b64_e32 v[2:3], s[8:9]
	flat_load_dwordx2 v[6:7], v[2:3]
.LBB9_4:
	s_load_dwordx4 s[8:11], s[0:1], 0x0
	s_lshl_b32 s2, s2, 2
	v_lshrrev_b32_e32 v1, 6, v0
	s_and_b32 s2, s2, 0x3fffffc
	v_or_b32_e32 v2, s2, v1
	s_waitcnt lgkmcnt(0)
	v_cmp_gt_i32_e32 vcc, s9, v2
	s_and_saveexec_b64 s[2:3], vcc
	s_cbranch_execz .LBB9_39
; %bb.5:
	s_load_dwordx4 s[12:15], s[0:1], 0x18
	s_load_dwordx4 s[16:19], s[0:1], 0x38
	s_load_dwordx2 s[2:3], s[0:1], 0x50
	v_lshlrev_b32_e32 v10, 2, v2
	s_waitcnt lgkmcnt(0)
	global_load_dwordx2 v[2:3], v10, s[12:13]
	global_load_dwordx2 v[8:9], v10, s[16:17]
	global_load_dword v14, v10, s[2:3]
	s_waitcnt vmcnt(0)
	v_subrev_u32_e32 v10, s4, v2
	v_cmp_lt_i32_e32 vcc, v2, v3
	v_mov_b32_e32 v2, s10
	s_and_saveexec_b64 s[2:3], vcc
	s_cbranch_execz .LBB9_7
; %bb.6:
	v_ashrrev_i32_e32 v11, 31, v10
	v_lshl_add_u64 v[12:13], v[10:11], 2, s[14:15]
	global_load_dword v2, v[12:13], off
	s_waitcnt vmcnt(0)
	v_subrev_u32_e32 v2, s4, v2
.LBB9_7:
	s_or_b64 exec, exec, s[2:3]
	s_load_dwordx4 s[20:23], s[0:1], 0x58
	s_load_dwordx2 s[12:13], s[0:1], 0x28
	s_load_dwordx2 s[16:17], s[0:1], 0x48
	v_subrev_u32_e32 v12, s5, v8
	v_cmp_lt_i32_e32 vcc, v8, v9
	v_mov_b32_e32 v8, s10
	s_and_saveexec_b64 s[0:1], vcc
	s_cbranch_execz .LBB9_9
; %bb.8:
	v_ashrrev_i32_e32 v13, 31, v12
	v_lshl_add_u64 v[16:17], v[12:13], 2, s[18:19]
	global_load_dword v8, v[16:17], off
	s_waitcnt vmcnt(0)
	v_subrev_u32_e32 v8, s5, v8
.LBB9_9:
	s_or_b64 exec, exec, s[0:1]
	v_min_i32_e32 v33, v8, v2
	v_mbcnt_lo_u32_b32 v2, -1, 0
	v_mbcnt_hi_u32_b32 v2, -1, v2
	v_and_b32_e32 v11, 0xc0, v0
	v_lshlrev_b32_e32 v19, 11, v1
	v_subrev_u32_e32 v20, s4, v3
	v_and_b32_e32 v1, 63, v0
	v_and_b32_e32 v3, 64, v2
	v_bitop3_b32 v0, v0, 63, v0 bitop3:0xc
	v_add_u32_e32 v8, v10, v1
	v_add_u32_e32 v10, v12, v1
	;; [unrolled: 1-line block ×3, first 2 shown]
	v_lshrrev_b64 v[12:13], v0, -1
	v_xor_b32_e32 v0, 32, v2
	v_cmp_lt_i32_e32 vcc, v0, v3
	s_mov_b32 s0, 0
	s_cmp_lg_u32 s8, 0
	v_cndmask_b32_e32 v0, v2, v0, vcc
	v_lshlrev_b32_e32 v25, 2, v0
	v_xor_b32_e32 v0, 16, v2
	v_cmp_lt_i32_e32 vcc, v0, v3
	s_cselect_b64 s[24:25], -1, 0
	s_mov_b32 s2, s0
	v_cndmask_b32_e32 v0, v2, v0, vcc
	v_lshlrev_b32_e32 v26, 2, v0
	v_xor_b32_e32 v0, 8, v2
	v_cmp_lt_i32_e32 vcc, v0, v3
	s_mov_b32 s3, s0
	v_or_b32_e32 v18, 0x2000, v11
	v_cndmask_b32_e32 v0, v2, v0, vcc
	v_lshlrev_b32_e32 v27, 2, v0
	v_xor_b32_e32 v0, 4, v2
	v_cmp_lt_i32_e32 vcc, v0, v3
	s_cmp_eq_u32 s8, 0
	s_mov_b32 s1, s0
	v_cndmask_b32_e32 v0, v2, v0, vcc
	v_lshlrev_b32_e32 v28, 2, v0
	v_xor_b32_e32 v0, 2, v2
	v_cmp_lt_i32_e32 vcc, v0, v3
	v_mov_b64_e32 v[38:39], s[2:3]
	v_subrev_u32_e32 v21, s5, v9
	v_cndmask_b32_e32 v0, v2, v0, vcc
	v_lshlrev_b32_e32 v29, 2, v0
	v_xor_b32_e32 v0, 1, v2
	v_cmp_lt_i32_e32 vcc, v0, v3
	v_subrev_u32_e32 v22, s6, v14
	v_lshl_or_b32 v23, v1, 5, v19
	v_cndmask_b32_e32 v0, v2, v0, vcc
	v_lshlrev_b32_e32 v30, 2, v0
	v_cndmask_b32_e64 v0, 0, 1, s[24:25]
	v_add_u32_e32 v24, s6, v1
	s_cselect_b32 s11, 8, 16
	s_cselect_b32 s30, 16, 8
	s_mov_b64 s[6:7], 0
	v_add_u32_e32 v31, v18, v1
	v_mov_b32_e32 v15, 0
	v_mov_b64_e32 v[36:37], s[0:1]
	v_mov_b32_e32 v32, 1
	v_cmp_ne_u32_e64 s[0:1], 1, v0
	s_branch .LBB9_11
.LBB9_10:                               ;   in Loop: Header=BB9_11 Depth=1
	s_or_b64 exec, exec, s[8:9]
	ds_bpermute_b32 v0, v25, v34
	s_bcnt1_i32_b64 s2, vcc
	v_add_u32_e32 v22, s2, v22
	s_waitcnt lgkmcnt(0)
	v_min_i32_e32 v0, v0, v34
	ds_bpermute_b32 v1, v26, v0
	s_waitcnt lgkmcnt(0)
	v_min_i32_e32 v0, v1, v0
	ds_bpermute_b32 v1, v27, v0
	;; [unrolled: 3-line block ×5, first 2 shown]
	s_waitcnt lgkmcnt(0)
	v_min_i32_e32 v33, v1, v0
	v_cmp_le_i32_e32 vcc, s10, v33
	s_or_b64 s[6:7], vcc, s[6:7]
	s_andn2_b64 exec, exec, s[6:7]
	s_cbranch_execz .LBB9_39
.LBB9_11:                               ; =>This Loop Header: Depth=1
                                        ;     Child Loop BB9_14 Depth 2
                                        ;     Child Loop BB9_27 Depth 2
	v_cmp_lt_i32_e32 vcc, v8, v20
	v_mov_b32_e32 v34, s10
	ds_write_b8 v31, v15
	ds_write_b128 v23, v[36:39]
	ds_write_b128 v23, v[36:39] offset:16
	s_waitcnt lgkmcnt(0)
	s_and_saveexec_b64 s[8:9], vcc
	s_cbranch_execz .LBB9_24
; %bb.12:                               ;   in Loop: Header=BB9_11 Depth=1
	v_lshlrev_b32_e32 v14, 2, v8
	s_mov_b64 s[24:25], 0
	v_mov_b32_e32 v34, s10
	s_branch .LBB9_14
.LBB9_13:                               ;   in Loop: Header=BB9_14 Depth=2
	s_or_b64 exec, exec, s[28:29]
	s_and_b64 s[2:3], exec, s[26:27]
	s_or_b64 s[24:25], s[2:3], s[24:25]
	s_andn2_b64 exec, exec, s[24:25]
	s_cbranch_execz .LBB9_23
.LBB9_14:                               ;   Parent Loop BB9_11 Depth=1
                                        ; =>  This Inner Loop Header: Depth=2
	v_ashrrev_i32_e32 v9, 31, v8
	v_lshl_add_u64 v[0:1], v[8:9], 2, s[14:15]
	global_load_dword v0, v[0:1], off
	s_waitcnt vmcnt(0)
	v_subrev_u32_e32 v0, s4, v0
	v_sub_u32_e32 v2, v0, v33
	v_cmp_gt_u32_e64 s[2:3], 64, v2
	v_cmp_lt_u32_e32 vcc, 63, v2
	s_and_saveexec_b64 s[26:27], vcc
	s_xor_b64 s[26:27], exec, s[26:27]
; %bb.15:                               ;   in Loop: Header=BB9_14 Depth=2
	v_min_i32_e32 v34, v0, v34
                                        ; implicit-def: $vgpr2
; %bb.16:                               ;   in Loop: Header=BB9_14 Depth=2
	s_andn2_saveexec_b64 s[26:27], s[26:27]
	s_cbranch_execz .LBB9_21
; %bb.17:                               ;   in Loop: Header=BB9_14 Depth=2
	v_lshl_add_u64 v[0:1], v[14:15], 3, s[12:13]
	global_load_dwordx2 v[16:17], v[0:1], off
	v_add_u32_e32 v3, v18, v2
	v_lshlrev_b32_e32 v2, 5, v2
	s_and_b64 vcc, exec, s[0:1]
	v_add_u32_e32 v2, v19, v2
	s_mov_b64 s[28:29], -1
	ds_write_b8 v3, v32
	s_waitcnt vmcnt(0)
	v_mul_f64 v[16:17], v[4:5], v[16:17]
	ds_write_b64 v2, v[16:17]
	s_cbranch_vccnz .LBB9_19
; %bb.18:                               ;   in Loop: Header=BB9_14 Depth=2
	global_load_dwordx4 v[40:43], v[0:1], off offset:8
	global_load_dwordx2 v[16:17], v[0:1], off offset:24
	s_mov_b64 s[28:29], 0
	s_waitcnt vmcnt(1)
	v_mul_f64 v[42:43], v[4:5], v[42:43]
	v_mul_f64 v[40:41], v[4:5], v[40:41]
	s_waitcnt vmcnt(0)
	v_mul_f64 v[16:17], v[4:5], v[16:17]
	ds_write2_b64 v2, v[42:43], v[40:41] offset0:1 offset1:2
	ds_write_b64 v2, v[16:17] offset:24
.LBB9_19:                               ;   in Loop: Header=BB9_14 Depth=2
	s_andn2_b64 vcc, exec, s[28:29]
	s_cbranch_vccnz .LBB9_21
; %bb.20:                               ;   in Loop: Header=BB9_14 Depth=2
	global_load_dwordx4 v[40:43], v[0:1], off offset:8
	global_load_dwordx2 v[16:17], v[0:1], off offset:24
	s_waitcnt vmcnt(1)
	v_mul_f64 v[0:1], v[4:5], v[40:41]
	v_mul_f64 v[40:41], v[4:5], v[42:43]
	s_waitcnt vmcnt(0)
	v_mul_f64 v[16:17], v[4:5], v[16:17]
	ds_write2_b64 v2, v[0:1], v[40:41] offset0:1 offset1:2
	ds_write_b64 v2, v[16:17] offset:24
.LBB9_21:                               ;   in Loop: Header=BB9_14 Depth=2
	s_or_b64 exec, exec, s[26:27]
	s_mov_b64 s[26:27], -1
	s_and_saveexec_b64 s[28:29], s[2:3]
	s_cbranch_execz .LBB9_13
; %bb.22:                               ;   in Loop: Header=BB9_14 Depth=2
	v_add_u32_e32 v8, 64, v8
	v_cmp_ge_i32_e32 vcc, v8, v20
	v_add_u32_e32 v14, 0x100, v14
	s_orn2_b64 s[26:27], vcc, exec
	s_branch .LBB9_13
.LBB9_23:                               ;   in Loop: Header=BB9_11 Depth=1
	s_or_b64 exec, exec, s[24:25]
.LBB9_24:                               ;   in Loop: Header=BB9_11 Depth=1
	s_or_b64 exec, exec, s[8:9]
	v_cmp_lt_i32_e32 vcc, v10, v21
	s_waitcnt lgkmcnt(0)
	s_and_saveexec_b64 s[8:9], vcc
	s_cbranch_execz .LBB9_37
; %bb.25:                               ;   in Loop: Header=BB9_11 Depth=1
	v_lshlrev_b32_e32 v14, 2, v10
	s_mov_b64 s[24:25], 0
	s_branch .LBB9_27
.LBB9_26:                               ;   in Loop: Header=BB9_27 Depth=2
	s_or_b64 exec, exec, s[28:29]
	s_and_b64 s[2:3], exec, s[26:27]
	s_or_b64 s[24:25], s[2:3], s[24:25]
	s_andn2_b64 exec, exec, s[24:25]
	s_cbranch_execz .LBB9_36
.LBB9_27:                               ;   Parent Loop BB9_11 Depth=1
                                        ; =>  This Inner Loop Header: Depth=2
	v_ashrrev_i32_e32 v11, 31, v10
	v_lshl_add_u64 v[0:1], v[10:11], 2, s[18:19]
	global_load_dword v0, v[0:1], off
	s_waitcnt vmcnt(0)
	v_subrev_u32_e32 v0, s5, v0
	v_sub_u32_e32 v11, v0, v33
	v_cmp_gt_u32_e64 s[2:3], 64, v11
	v_cmp_lt_u32_e32 vcc, 63, v11
	s_and_saveexec_b64 s[26:27], vcc
	s_xor_b64 s[26:27], exec, s[26:27]
; %bb.28:                               ;   in Loop: Header=BB9_27 Depth=2
	v_min_i32_e32 v34, v0, v34
                                        ; implicit-def: $vgpr11
; %bb.29:                               ;   in Loop: Header=BB9_27 Depth=2
	s_andn2_saveexec_b64 s[26:27], s[26:27]
	s_cbranch_execz .LBB9_34
; %bb.30:                               ;   in Loop: Header=BB9_27 Depth=2
	v_lshl_add_u64 v[16:17], v[14:15], 3, s[16:17]
	global_load_dwordx2 v[40:41], v[16:17], off
	v_lshlrev_b32_e32 v0, 5, v11
	v_add_u32_e32 v9, v19, v0
	ds_read_b128 v[0:3], v9
	v_add_u32_e32 v11, v18, v11
	s_and_b64 vcc, exec, s[0:1]
	s_mov_b64 s[28:29], -1
	ds_write_b8 v11, v32
	s_waitcnt vmcnt(0) lgkmcnt(1)
	v_fmac_f64_e32 v[0:1], v[6:7], v[40:41]
	ds_write_b64 v9, v[0:1]
	s_cbranch_vccnz .LBB9_32
; %bb.31:                               ;   in Loop: Header=BB9_27 Depth=2
	global_load_dwordx4 v[40:43], v[16:17], off offset:8
	global_load_dwordx2 v[0:1], v[16:17], off offset:24
	ds_read_b128 v[44:47], v9 offset:16
	s_mov_b64 s[28:29], 0
	s_waitcnt vmcnt(1) lgkmcnt(0)
	v_fmac_f64_e32 v[44:45], v[6:7], v[40:41]
	s_waitcnt vmcnt(0)
	v_fmac_f64_e32 v[46:47], v[6:7], v[0:1]
	v_fma_f64 v[42:43], v[6:7], v[42:43], v[2:3]
	v_mov_b32_e32 v0, v44
	v_mov_b32_e32 v1, v45
	ds_write_b64 v9, v[46:47] offset:24
	ds_write2_b64 v9, v[42:43], v[0:1] offset0:1 offset1:2
.LBB9_32:                               ;   in Loop: Header=BB9_27 Depth=2
	s_andn2_b64 vcc, exec, s[28:29]
	s_cbranch_vccnz .LBB9_34
; %bb.33:                               ;   in Loop: Header=BB9_27 Depth=2
	global_load_dwordx4 v[40:43], v[16:17], off offset:8
	global_load_dwordx2 v[0:1], v[16:17], off offset:24
	ds_read_b128 v[44:47], v9 offset:16
	s_waitcnt vmcnt(1)
	v_fmac_f64_e32 v[2:3], v[6:7], v[40:41]
	s_waitcnt lgkmcnt(0)
	v_fmac_f64_e32 v[44:45], v[6:7], v[42:43]
	s_waitcnt vmcnt(0)
	v_fmac_f64_e32 v[46:47], v[6:7], v[0:1]
	v_mov_b32_e32 v0, v2
	v_mov_b32_e32 v1, v3
	;; [unrolled: 1-line block ×4, first 2 shown]
	ds_write2_b64 v9, v[0:1], v[2:3] offset0:1 offset1:2
	ds_write_b64 v9, v[46:47] offset:24
.LBB9_34:                               ;   in Loop: Header=BB9_27 Depth=2
	s_or_b64 exec, exec, s[26:27]
	s_mov_b64 s[26:27], -1
	s_and_saveexec_b64 s[28:29], s[2:3]
	s_cbranch_execz .LBB9_26
; %bb.35:                               ;   in Loop: Header=BB9_27 Depth=2
	v_add_u32_e32 v10, 64, v10
	v_cmp_ge_i32_e32 vcc, v10, v21
	v_add_u32_e32 v14, 0x100, v14
	s_orn2_b64 s[26:27], vcc, exec
	s_branch .LBB9_26
.LBB9_36:                               ;   in Loop: Header=BB9_11 Depth=1
	s_or_b64 exec, exec, s[24:25]
.LBB9_37:                               ;   in Loop: Header=BB9_11 Depth=1
	s_or_b64 exec, exec, s[8:9]
	s_waitcnt lgkmcnt(0)
	ds_read_u8 v0, v31
	s_waitcnt lgkmcnt(0)
	v_and_b32_e32 v1, 1, v0
	v_cmp_eq_u32_e64 s[2:3], 1, v1
	v_cmp_ne_u16_e32 vcc, 0, v0
	s_and_saveexec_b64 s[8:9], s[2:3]
	s_cbranch_execz .LBB9_10
; %bb.38:                               ;   in Loop: Header=BB9_11 Depth=1
	v_and_b32_e32 v1, vcc_lo, v12
	v_and_b32_e32 v0, vcc_hi, v13
	v_bcnt_u32_b32 v1, v1, 0
	ds_read2_b64 v[40:43], v23 offset1:3
	v_bcnt_u32_b32 v0, v0, v1
	v_add3_u32 v0, v22, v0, -1
	v_ashrrev_i32_e32 v1, 31, v0
	v_lshl_add_u64 v[2:3], v[0:1], 2, s[20:21]
	v_add_u32_e32 v1, s11, v23
	s_waitcnt lgkmcnt(0)
	v_mov_b32_e32 v44, v40
	v_mov_b32_e32 v45, v41
	v_add_u32_e32 v11, s30, v23
	ds_read_b64 v[46:47], v1
	ds_read_b64 v[40:41], v11
	v_lshlrev_b32_e32 v14, 2, v0
	v_add_u32_e32 v9, v24, v33
	v_lshl_add_u64 v[0:1], v[14:15], 3, s[22:23]
	global_store_dword v[2:3], v9, off
	s_waitcnt lgkmcnt(1)
	global_store_dwordx4 v[0:1], v[44:47], off
	s_waitcnt lgkmcnt(0)
	global_store_dwordx4 v[0:1], v[40:43], off offset:16
	s_branch .LBB9_10
.LBB9_39:
	s_endpgm
	.section	.rodata,"a",@progbits
	.p2align	6, 0x0
	.amdhsa_kernel _ZN9rocsparseL39bsrgeam_wf_per_row_multipass_2_3_kernelILj256ELj2ELj64EdEEv20rocsparse_direction_iiiNS_24const_host_device_scalarIT2_EEPKiS6_PKS3_S4_S6_S6_S8_S6_PiPS3_21rocsparse_index_base_SB_SB_b
		.amdhsa_group_segment_fixed_size 8448
		.amdhsa_private_segment_fixed_size 0
		.amdhsa_kernarg_size 120
		.amdhsa_user_sgpr_count 2
		.amdhsa_user_sgpr_dispatch_ptr 0
		.amdhsa_user_sgpr_queue_ptr 0
		.amdhsa_user_sgpr_kernarg_segment_ptr 1
		.amdhsa_user_sgpr_dispatch_id 0
		.amdhsa_user_sgpr_kernarg_preload_length 0
		.amdhsa_user_sgpr_kernarg_preload_offset 0
		.amdhsa_user_sgpr_private_segment_size 0
		.amdhsa_uses_dynamic_stack 0
		.amdhsa_enable_private_segment 0
		.amdhsa_system_sgpr_workgroup_id_x 1
		.amdhsa_system_sgpr_workgroup_id_y 0
		.amdhsa_system_sgpr_workgroup_id_z 0
		.amdhsa_system_sgpr_workgroup_info 0
		.amdhsa_system_vgpr_workitem_id 0
		.amdhsa_next_free_vgpr 48
		.amdhsa_next_free_sgpr 31
		.amdhsa_accum_offset 48
		.amdhsa_reserve_vcc 1
		.amdhsa_float_round_mode_32 0
		.amdhsa_float_round_mode_16_64 0
		.amdhsa_float_denorm_mode_32 3
		.amdhsa_float_denorm_mode_16_64 3
		.amdhsa_dx10_clamp 1
		.amdhsa_ieee_mode 1
		.amdhsa_fp16_overflow 0
		.amdhsa_tg_split 0
		.amdhsa_exception_fp_ieee_invalid_op 0
		.amdhsa_exception_fp_denorm_src 0
		.amdhsa_exception_fp_ieee_div_zero 0
		.amdhsa_exception_fp_ieee_overflow 0
		.amdhsa_exception_fp_ieee_underflow 0
		.amdhsa_exception_fp_ieee_inexact 0
		.amdhsa_exception_int_div_zero 0
	.end_amdhsa_kernel
	.section	.text._ZN9rocsparseL39bsrgeam_wf_per_row_multipass_2_3_kernelILj256ELj2ELj64EdEEv20rocsparse_direction_iiiNS_24const_host_device_scalarIT2_EEPKiS6_PKS3_S4_S6_S6_S8_S6_PiPS3_21rocsparse_index_base_SB_SB_b,"axG",@progbits,_ZN9rocsparseL39bsrgeam_wf_per_row_multipass_2_3_kernelILj256ELj2ELj64EdEEv20rocsparse_direction_iiiNS_24const_host_device_scalarIT2_EEPKiS6_PKS3_S4_S6_S6_S8_S6_PiPS3_21rocsparse_index_base_SB_SB_b,comdat
.Lfunc_end9:
	.size	_ZN9rocsparseL39bsrgeam_wf_per_row_multipass_2_3_kernelILj256ELj2ELj64EdEEv20rocsparse_direction_iiiNS_24const_host_device_scalarIT2_EEPKiS6_PKS3_S4_S6_S6_S8_S6_PiPS3_21rocsparse_index_base_SB_SB_b, .Lfunc_end9-_ZN9rocsparseL39bsrgeam_wf_per_row_multipass_2_3_kernelILj256ELj2ELj64EdEEv20rocsparse_direction_iiiNS_24const_host_device_scalarIT2_EEPKiS6_PKS3_S4_S6_S6_S8_S6_PiPS3_21rocsparse_index_base_SB_SB_b
                                        ; -- End function
	.set _ZN9rocsparseL39bsrgeam_wf_per_row_multipass_2_3_kernelILj256ELj2ELj64EdEEv20rocsparse_direction_iiiNS_24const_host_device_scalarIT2_EEPKiS6_PKS3_S4_S6_S6_S8_S6_PiPS3_21rocsparse_index_base_SB_SB_b.num_vgpr, 48
	.set _ZN9rocsparseL39bsrgeam_wf_per_row_multipass_2_3_kernelILj256ELj2ELj64EdEEv20rocsparse_direction_iiiNS_24const_host_device_scalarIT2_EEPKiS6_PKS3_S4_S6_S6_S8_S6_PiPS3_21rocsparse_index_base_SB_SB_b.num_agpr, 0
	.set _ZN9rocsparseL39bsrgeam_wf_per_row_multipass_2_3_kernelILj256ELj2ELj64EdEEv20rocsparse_direction_iiiNS_24const_host_device_scalarIT2_EEPKiS6_PKS3_S4_S6_S6_S8_S6_PiPS3_21rocsparse_index_base_SB_SB_b.numbered_sgpr, 31
	.set _ZN9rocsparseL39bsrgeam_wf_per_row_multipass_2_3_kernelILj256ELj2ELj64EdEEv20rocsparse_direction_iiiNS_24const_host_device_scalarIT2_EEPKiS6_PKS3_S4_S6_S6_S8_S6_PiPS3_21rocsparse_index_base_SB_SB_b.num_named_barrier, 0
	.set _ZN9rocsparseL39bsrgeam_wf_per_row_multipass_2_3_kernelILj256ELj2ELj64EdEEv20rocsparse_direction_iiiNS_24const_host_device_scalarIT2_EEPKiS6_PKS3_S4_S6_S6_S8_S6_PiPS3_21rocsparse_index_base_SB_SB_b.private_seg_size, 0
	.set _ZN9rocsparseL39bsrgeam_wf_per_row_multipass_2_3_kernelILj256ELj2ELj64EdEEv20rocsparse_direction_iiiNS_24const_host_device_scalarIT2_EEPKiS6_PKS3_S4_S6_S6_S8_S6_PiPS3_21rocsparse_index_base_SB_SB_b.uses_vcc, 1
	.set _ZN9rocsparseL39bsrgeam_wf_per_row_multipass_2_3_kernelILj256ELj2ELj64EdEEv20rocsparse_direction_iiiNS_24const_host_device_scalarIT2_EEPKiS6_PKS3_S4_S6_S6_S8_S6_PiPS3_21rocsparse_index_base_SB_SB_b.uses_flat_scratch, 0
	.set _ZN9rocsparseL39bsrgeam_wf_per_row_multipass_2_3_kernelILj256ELj2ELj64EdEEv20rocsparse_direction_iiiNS_24const_host_device_scalarIT2_EEPKiS6_PKS3_S4_S6_S6_S8_S6_PiPS3_21rocsparse_index_base_SB_SB_b.has_dyn_sized_stack, 0
	.set _ZN9rocsparseL39bsrgeam_wf_per_row_multipass_2_3_kernelILj256ELj2ELj64EdEEv20rocsparse_direction_iiiNS_24const_host_device_scalarIT2_EEPKiS6_PKS3_S4_S6_S6_S8_S6_PiPS3_21rocsparse_index_base_SB_SB_b.has_recursion, 0
	.set _ZN9rocsparseL39bsrgeam_wf_per_row_multipass_2_3_kernelILj256ELj2ELj64EdEEv20rocsparse_direction_iiiNS_24const_host_device_scalarIT2_EEPKiS6_PKS3_S4_S6_S6_S8_S6_PiPS3_21rocsparse_index_base_SB_SB_b.has_indirect_call, 0
	.section	.AMDGPU.csdata,"",@progbits
; Kernel info:
; codeLenInByte = 1700
; TotalNumSgprs: 37
; NumVgprs: 48
; NumAgprs: 0
; TotalNumVgprs: 48
; ScratchSize: 0
; MemoryBound: 0
; FloatMode: 240
; IeeeMode: 1
; LDSByteSize: 8448 bytes/workgroup (compile time only)
; SGPRBlocks: 4
; VGPRBlocks: 5
; NumSGPRsForWavesPerEU: 37
; NumVGPRsForWavesPerEU: 48
; AccumOffset: 48
; Occupancy: 8
; WaveLimiterHint : 1
; COMPUTE_PGM_RSRC2:SCRATCH_EN: 0
; COMPUTE_PGM_RSRC2:USER_SGPR: 2
; COMPUTE_PGM_RSRC2:TRAP_HANDLER: 0
; COMPUTE_PGM_RSRC2:TGID_X_EN: 1
; COMPUTE_PGM_RSRC2:TGID_Y_EN: 0
; COMPUTE_PGM_RSRC2:TGID_Z_EN: 0
; COMPUTE_PGM_RSRC2:TIDIG_COMP_CNT: 0
; COMPUTE_PGM_RSRC3_GFX90A:ACCUM_OFFSET: 11
; COMPUTE_PGM_RSRC3_GFX90A:TG_SPLIT: 0
	.section	.text._ZN9rocsparseL39bsrgeam_wf_per_row_multipass_2_3_kernelILj256ELj3ELj32EdEEv20rocsparse_direction_iiiNS_24const_host_device_scalarIT2_EEPKiS6_PKS3_S4_S6_S6_S8_S6_PiPS3_21rocsparse_index_base_SB_SB_b,"axG",@progbits,_ZN9rocsparseL39bsrgeam_wf_per_row_multipass_2_3_kernelILj256ELj3ELj32EdEEv20rocsparse_direction_iiiNS_24const_host_device_scalarIT2_EEPKiS6_PKS3_S4_S6_S6_S8_S6_PiPS3_21rocsparse_index_base_SB_SB_b,comdat
	.globl	_ZN9rocsparseL39bsrgeam_wf_per_row_multipass_2_3_kernelILj256ELj3ELj32EdEEv20rocsparse_direction_iiiNS_24const_host_device_scalarIT2_EEPKiS6_PKS3_S4_S6_S6_S8_S6_PiPS3_21rocsparse_index_base_SB_SB_b ; -- Begin function _ZN9rocsparseL39bsrgeam_wf_per_row_multipass_2_3_kernelILj256ELj3ELj32EdEEv20rocsparse_direction_iiiNS_24const_host_device_scalarIT2_EEPKiS6_PKS3_S4_S6_S6_S8_S6_PiPS3_21rocsparse_index_base_SB_SB_b
	.p2align	8
	.type	_ZN9rocsparseL39bsrgeam_wf_per_row_multipass_2_3_kernelILj256ELj3ELj32EdEEv20rocsparse_direction_iiiNS_24const_host_device_scalarIT2_EEPKiS6_PKS3_S4_S6_S6_S8_S6_PiPS3_21rocsparse_index_base_SB_SB_b,@function
_ZN9rocsparseL39bsrgeam_wf_per_row_multipass_2_3_kernelILj256ELj3ELj32EdEEv20rocsparse_direction_iiiNS_24const_host_device_scalarIT2_EEPKiS6_PKS3_S4_S6_S6_S8_S6_PiPS3_21rocsparse_index_base_SB_SB_b: ; @_ZN9rocsparseL39bsrgeam_wf_per_row_multipass_2_3_kernelILj256ELj3ELj32EdEEv20rocsparse_direction_iiiNS_24const_host_device_scalarIT2_EEPKiS6_PKS3_S4_S6_S6_S8_S6_PiPS3_21rocsparse_index_base_SB_SB_b
; %bb.0:
	s_load_dwordx4 s[4:7], s[0:1], 0x68
	s_load_dwordx2 s[12:13], s[0:1], 0x10
	s_load_dwordx2 s[8:9], s[0:1], 0x30
	s_waitcnt lgkmcnt(0)
	s_bitcmp1_b32 s7, 0
	s_cselect_b64 s[14:15], -1, 0
	s_xor_b64 s[10:11], s[14:15], -1
	s_and_b64 vcc, exec, s[14:15]
	v_mov_b64_e32 v[4:5], s[12:13]
	s_cbranch_vccnz .LBB10_2
; %bb.1:
	v_mov_b64_e32 v[2:3], s[12:13]
	flat_load_dwordx2 v[4:5], v[2:3]
.LBB10_2:
	s_andn2_b64 vcc, exec, s[10:11]
	v_mov_b64_e32 v[6:7], s[8:9]
	s_cbranch_vccnz .LBB10_4
; %bb.3:
	v_mov_b64_e32 v[2:3], s[8:9]
	flat_load_dwordx2 v[6:7], v[2:3]
.LBB10_4:
	s_load_dwordx4 s[8:11], s[0:1], 0x0
	s_lshl_b32 s2, s2, 3
	v_lshrrev_b32_e32 v1, 5, v0
	s_and_b32 s2, s2, 0x7fffff8
	v_or_b32_e32 v2, s2, v1
	s_waitcnt lgkmcnt(0)
	v_cmp_gt_i32_e32 vcc, s9, v2
	s_and_saveexec_b64 s[2:3], vcc
	s_cbranch_execz .LBB10_39
; %bb.5:
	s_load_dwordx4 s[12:15], s[0:1], 0x18
	s_load_dwordx4 s[16:19], s[0:1], 0x38
	s_load_dwordx2 s[2:3], s[0:1], 0x50
	v_lshlrev_b32_e32 v10, 2, v2
	s_waitcnt lgkmcnt(0)
	global_load_dwordx2 v[2:3], v10, s[12:13]
	global_load_dwordx2 v[8:9], v10, s[16:17]
	global_load_dword v14, v10, s[2:3]
	s_waitcnt vmcnt(0)
	v_subrev_u32_e32 v10, s4, v2
	v_cmp_lt_i32_e32 vcc, v2, v3
	v_mov_b32_e32 v2, s10
	s_and_saveexec_b64 s[2:3], vcc
	s_cbranch_execz .LBB10_7
; %bb.6:
	v_ashrrev_i32_e32 v11, 31, v10
	v_lshl_add_u64 v[12:13], v[10:11], 2, s[14:15]
	global_load_dword v2, v[12:13], off
	s_waitcnt vmcnt(0)
	v_subrev_u32_e32 v2, s4, v2
.LBB10_7:
	s_or_b64 exec, exec, s[2:3]
	s_load_dwordx4 s[20:23], s[0:1], 0x58
	s_load_dwordx2 s[12:13], s[0:1], 0x28
	s_load_dwordx2 s[16:17], s[0:1], 0x48
	v_subrev_u32_e32 v12, s5, v8
	v_cmp_lt_i32_e32 vcc, v8, v9
	v_mov_b32_e32 v8, s10
	s_and_saveexec_b64 s[0:1], vcc
	s_cbranch_execz .LBB10_9
; %bb.8:
	v_ashrrev_i32_e32 v13, 31, v12
	v_lshl_add_u64 v[16:17], v[12:13], 2, s[18:19]
	global_load_dword v8, v[16:17], off
	s_waitcnt vmcnt(0)
	v_subrev_u32_e32 v8, s5, v8
.LBB10_9:
	s_or_b64 exec, exec, s[0:1]
	v_subrev_u32_e32 v32, s4, v3
	v_and_b32_e32 v3, 31, v0
	s_movk_i32 s0, 0x900
	v_min_i32_e32 v45, v8, v2
	v_mul_u32_u24_e32 v2, 0x48, v3
	v_mul_u32_u24_e32 v31, 0x900, v1
	v_mad_u32_u24 v35, v1, s0, v2
	v_mbcnt_lo_u32_b32 v1, -1, 0
	v_mbcnt_hi_u32_b32 v1, -1, v1
	v_and_b32_e32 v11, 0xe0, v0
	v_and_b32_e32 v2, 64, v1
	v_bitop3_b32 v0, v0, 31, v0 bitop3:0xc
	v_add_u32_e32 v2, 64, v2
	v_lshrrev_b32_e64 v36, v0, -1
	v_xor_b32_e32 v0, 16, v1
	v_cmp_lt_i32_e32 vcc, v0, v2
	s_cmp_lg_u32 s8, 0
	s_mov_b32 s0, 0
	v_cndmask_b32_e32 v0, v1, v0, vcc
	v_lshlrev_b32_e32 v38, 2, v0
	v_xor_b32_e32 v0, 8, v1
	v_cmp_lt_i32_e32 vcc, v0, v2
	s_cselect_b64 s[2:3], -1, 0
	v_or_b32_e32 v30, 0x4800, v11
	v_cndmask_b32_e32 v0, v1, v0, vcc
	v_lshlrev_b32_e32 v39, 2, v0
	v_xor_b32_e32 v0, 4, v1
	v_cmp_lt_i32_e32 vcc, v0, v2
	v_mov_b32_e32 v13, 0
	s_cmp_eq_u32 s8, 0
	v_cndmask_b32_e32 v0, v1, v0, vcc
	v_lshlrev_b32_e32 v40, 2, v0
	v_xor_b32_e32 v0, 2, v1
	v_cmp_lt_i32_e32 vcc, v0, v2
	s_mov_b32 s1, s0
	s_mov_b32 s8, s0
	v_cndmask_b32_e32 v0, v1, v0, vcc
	v_lshlrev_b32_e32 v41, 2, v0
	v_xor_b32_e32 v0, 1, v1
	v_cmp_lt_i32_e32 vcc, v0, v2
	s_mov_b32 s9, s0
	v_subrev_u32_e32 v33, s5, v9
	v_cndmask_b32_e32 v0, v1, v0, vcc
	v_lshlrev_b32_e32 v42, 2, v0
	v_cndmask_b32_e64 v0, 0, 1, s[2:3]
	v_subrev_u32_e32 v34, s6, v14
	v_add_u32_e32 v8, v10, v3
	v_add_u32_e32 v10, v12, v3
	s_movk_i32 s11, 0x48
	v_add_u32_e32 v37, s6, v3
	s_cselect_b32 s30, 8, 24
	s_cselect_b32 s31, 16, 48
	;; [unrolled: 1-line block ×6, first 2 shown]
	s_mov_b64 s[6:7], 0
	v_add_u32_e32 v43, v30, v3
	v_mov_b64_e32 v[14:15], s[0:1]
	v_mov_b64_e32 v[16:17], s[8:9]
	v_mov_b32_e32 v48, v13
	v_mov_b32_e32 v49, v13
	v_mov_b32_e32 v44, 1
	v_cmp_ne_u32_e64 s[0:1], 1, v0
	s_branch .LBB10_11
.LBB10_10:                              ;   in Loop: Header=BB10_11 Depth=1
	s_or_b64 exec, exec, s[8:9]
	ds_bpermute_b32 v0, v38, v46
	s_bcnt1_i32_b64 s2, vcc
	v_add_u32_e32 v34, s2, v34
	s_waitcnt lgkmcnt(0)
	v_min_i32_e32 v0, v0, v46
	ds_bpermute_b32 v1, v39, v0
	s_waitcnt lgkmcnt(0)
	v_min_i32_e32 v0, v1, v0
	ds_bpermute_b32 v1, v40, v0
	;; [unrolled: 3-line block ×4, first 2 shown]
	s_waitcnt lgkmcnt(0)
	v_min_i32_e32 v45, v1, v0
	v_cmp_le_i32_e32 vcc, s10, v45
	s_or_b64 s[6:7], vcc, s[6:7]
	s_andn2_b64 exec, exec, s[6:7]
	s_cbranch_execz .LBB10_39
.LBB10_11:                              ; =>This Loop Header: Depth=1
                                        ;     Child Loop BB10_14 Depth 2
                                        ;     Child Loop BB10_27 Depth 2
	v_cmp_lt_i32_e32 vcc, v8, v32
	v_mov_b32_e32 v46, s10
	ds_write_b8 v43, v13
	ds_write2_b64 v35, v[14:15], v[16:17] offset1:1
	ds_write2_b64 v35, v[14:15], v[16:17] offset0:2 offset1:3
	ds_write2_b64 v35, v[14:15], v[16:17] offset0:4 offset1:5
	ds_write2_b64 v35, v[14:15], v[16:17] offset0:6 offset1:7
	ds_write_b64 v35, v[48:49] offset:64
	s_waitcnt lgkmcnt(0)
	s_and_saveexec_b64 s[8:9], vcc
	s_cbranch_execz .LBB10_24
; %bb.12:                               ;   in Loop: Header=BB10_11 Depth=1
	v_mad_u64_u32 v[0:1], s[2:3], v8, 9, 8
	s_mov_b64 s[24:25], 0
	v_mov_b32_e32 v46, s10
	s_branch .LBB10_14
.LBB10_13:                              ;   in Loop: Header=BB10_14 Depth=2
	s_or_b64 exec, exec, s[28:29]
	s_and_b64 s[2:3], exec, s[26:27]
	s_or_b64 s[24:25], s[2:3], s[24:25]
	s_andn2_b64 exec, exec, s[24:25]
	s_cbranch_execz .LBB10_23
.LBB10_14:                              ;   Parent Loop BB10_11 Depth=1
                                        ; =>  This Inner Loop Header: Depth=2
	v_ashrrev_i32_e32 v9, 31, v8
	v_lshl_add_u64 v[2:3], v[8:9], 2, s[14:15]
	global_load_dword v1, v[2:3], off
	s_waitcnt vmcnt(0)
	v_subrev_u32_e32 v2, s4, v1
	v_sub_u32_e32 v1, v2, v45
	v_cmp_gt_u32_e64 s[2:3], 32, v1
	v_cmp_lt_u32_e32 vcc, 31, v1
	s_and_saveexec_b64 s[26:27], vcc
	s_xor_b64 s[26:27], exec, s[26:27]
; %bb.15:                               ;   in Loop: Header=BB10_14 Depth=2
	v_min_i32_e32 v46, v2, v46
                                        ; implicit-def: $vgpr1
; %bb.16:                               ;   in Loop: Header=BB10_14 Depth=2
	s_andn2_saveexec_b64 s[26:27], s[26:27]
	s_cbranch_execz .LBB10_21
; %bb.17:                               ;   in Loop: Header=BB10_14 Depth=2
	v_add_u32_e32 v12, -8, v0
	v_lshl_add_u64 v[2:3], v[12:13], 3, s[12:13]
	global_load_dwordx2 v[20:21], v[2:3], off
	v_add_u32_e32 v3, v30, v1
	v_mul_lo_u32 v1, v1, s11
	v_add_u32_e32 v9, v31, v1
	v_add_u32_e32 v12, -4, v0
	s_mov_b64 s[28:29], -1
	s_and_b64 vcc, exec, s[0:1]
	v_add_u32_e32 v18, -2, v0
	v_add_u32_e32 v26, -7, v0
	;; [unrolled: 1-line block ×4, first 2 shown]
	v_lshl_add_u64 v[22:23], v[12:13], 3, s[12:13]
	v_add_u32_e32 v12, -5, v0
	ds_write_b8 v3, v44
	s_waitcnt vmcnt(0)
	v_mul_f64 v[20:21], v[4:5], v[20:21]
	ds_write_b64 v9, v[20:21]
	v_add_u32_e32 v20, -3, v0
	s_cbranch_vccnz .LBB10_19
; %bb.18:                               ;   in Loop: Header=BB10_14 Depth=2
	v_lshl_add_u64 v[28:29], v[12:13], 3, s[12:13]
	v_mov_b32_e32 v19, v13
	v_mov_b32_e32 v27, v13
	;; [unrolled: 1-line block ×3, first 2 shown]
	v_lshl_add_u64 v[50:51], v[18:19], 3, s[12:13]
	v_lshl_add_u64 v[52:53], v[26:27], 3, s[12:13]
	global_load_dwordx2 v[54:55], v[28:29], off
	global_load_dwordx2 v[56:57], v[50:51], off
	;; [unrolled: 1-line block ×4, first 2 shown]
	v_lshl_add_u64 v[28:29], v[2:3], 3, s[12:13]
	v_mov_b32_e32 v25, v13
	v_mov_b32_e32 v21, v13
	;; [unrolled: 1-line block ×3, first 2 shown]
	v_lshl_add_u64 v[50:51], v[24:25], 3, s[12:13]
	v_lshl_add_u64 v[52:53], v[20:21], 3, s[12:13]
	v_lshl_add_u64 v[62:63], v[0:1], 3, s[12:13]
	global_load_dwordx2 v[64:65], v[28:29], off
	global_load_dwordx2 v[66:67], v[50:51], off
	;; [unrolled: 1-line block ×4, first 2 shown]
	s_mov_b64 s[28:29], 0
	s_waitcnt vmcnt(7)
	v_mul_f64 v[28:29], v[4:5], v[54:55]
	s_waitcnt vmcnt(6)
	v_mul_f64 v[50:51], v[4:5], v[56:57]
	s_waitcnt vmcnt(5)
	v_mul_f64 v[52:53], v[4:5], v[58:59]
	s_waitcnt vmcnt(4)
	v_mul_f64 v[54:55], v[4:5], v[60:61]
	s_waitcnt vmcnt(3)
	v_mul_f64 v[56:57], v[4:5], v[64:65]
	s_waitcnt vmcnt(2)
	v_mul_f64 v[58:59], v[4:5], v[66:67]
	s_waitcnt vmcnt(1)
	v_mul_f64 v[60:61], v[4:5], v[68:69]
	s_waitcnt vmcnt(0)
	v_mul_f64 v[62:63], v[4:5], v[70:71]
	ds_write2_b64 v9, v[28:29], v[50:51] offset0:1 offset1:2
	ds_write2_b64 v9, v[52:53], v[54:55] offset0:3 offset1:4
	;; [unrolled: 1-line block ×4, first 2 shown]
.LBB10_19:                              ;   in Loop: Header=BB10_14 Depth=2
	s_andn2_b64 vcc, exec, s[28:29]
	s_cbranch_vccnz .LBB10_21
; %bb.20:                               ;   in Loop: Header=BB10_14 Depth=2
	v_mov_b32_e32 v27, v13
	v_mov_b32_e32 v25, v13
	;; [unrolled: 1-line block ×3, first 2 shown]
	v_lshl_add_u64 v[26:27], v[26:27], 3, s[12:13]
	v_lshl_add_u64 v[24:25], v[24:25], 3, s[12:13]
	;; [unrolled: 1-line block ×4, first 2 shown]
	v_mov_b32_e32 v19, v13
	v_mov_b32_e32 v3, v13
	;; [unrolled: 1-line block ×3, first 2 shown]
	global_load_dwordx2 v[50:51], v[26:27], off
	global_load_dwordx2 v[52:53], v[24:25], off
	;; [unrolled: 1-line block ×4, first 2 shown]
	v_lshl_add_u64 v[18:19], v[18:19], 3, s[12:13]
	v_lshl_add_u64 v[2:3], v[2:3], 3, s[12:13]
	;; [unrolled: 1-line block ×3, first 2 shown]
	global_load_dwordx2 v[24:25], v[20:21], off
	global_load_dwordx2 v[26:27], v[18:19], off
	;; [unrolled: 1-line block ×4, first 2 shown]
	s_waitcnt vmcnt(7)
	v_mul_f64 v[2:3], v[4:5], v[50:51]
	s_waitcnt vmcnt(6)
	v_mul_f64 v[18:19], v[4:5], v[52:53]
	;; [unrolled: 2-line block ×8, first 2 shown]
	ds_write2_b64 v9, v[2:3], v[18:19] offset0:1 offset1:2
	ds_write2_b64 v9, v[20:21], v[22:23] offset0:3 offset1:4
	;; [unrolled: 1-line block ×4, first 2 shown]
.LBB10_21:                              ;   in Loop: Header=BB10_14 Depth=2
	s_or_b64 exec, exec, s[26:27]
	s_mov_b64 s[26:27], -1
	s_and_saveexec_b64 s[28:29], s[2:3]
	s_cbranch_execz .LBB10_13
; %bb.22:                               ;   in Loop: Header=BB10_14 Depth=2
	v_add_u32_e32 v8, 32, v8
	v_cmp_ge_i32_e32 vcc, v8, v32
	v_add_u32_e32 v0, 0x120, v0
	s_orn2_b64 s[26:27], vcc, exec
	s_branch .LBB10_13
.LBB10_23:                              ;   in Loop: Header=BB10_11 Depth=1
	s_or_b64 exec, exec, s[24:25]
.LBB10_24:                              ;   in Loop: Header=BB10_11 Depth=1
	s_or_b64 exec, exec, s[8:9]
	v_cmp_lt_i32_e32 vcc, v10, v33
	s_waitcnt lgkmcnt(0)
	s_and_saveexec_b64 s[8:9], vcc
	s_cbranch_execz .LBB10_37
; %bb.25:                               ;   in Loop: Header=BB10_11 Depth=1
	v_mad_u64_u32 v[18:19], s[2:3], v10, 9, 8
	s_mov_b64 s[24:25], 0
	s_branch .LBB10_27
.LBB10_26:                              ;   in Loop: Header=BB10_27 Depth=2
	s_or_b64 exec, exec, s[28:29]
	s_and_b64 s[2:3], exec, s[26:27]
	s_or_b64 s[24:25], s[2:3], s[24:25]
	s_andn2_b64 exec, exec, s[24:25]
	s_cbranch_execz .LBB10_36
.LBB10_27:                              ;   Parent Loop BB10_11 Depth=1
                                        ; =>  This Inner Loop Header: Depth=2
	v_ashrrev_i32_e32 v11, 31, v10
	v_lshl_add_u64 v[0:1], v[10:11], 2, s[18:19]
	global_load_dword v0, v[0:1], off
	s_waitcnt vmcnt(0)
	v_subrev_u32_e32 v1, s5, v0
	v_sub_u32_e32 v0, v1, v45
	v_cmp_gt_u32_e64 s[2:3], 32, v0
	v_cmp_lt_u32_e32 vcc, 31, v0
	s_and_saveexec_b64 s[26:27], vcc
	s_xor_b64 s[26:27], exec, s[26:27]
; %bb.28:                               ;   in Loop: Header=BB10_27 Depth=2
	v_min_i32_e32 v46, v1, v46
                                        ; implicit-def: $vgpr0
; %bb.29:                               ;   in Loop: Header=BB10_27 Depth=2
	s_andn2_saveexec_b64 s[26:27], s[26:27]
	s_cbranch_execz .LBB10_34
; %bb.30:                               ;   in Loop: Header=BB10_27 Depth=2
	v_add_u32_e32 v12, -8, v18
	v_lshl_add_u64 v[2:3], v[12:13], 3, s[16:17]
	global_load_dwordx2 v[50:51], v[2:3], off
	v_add_u32_e32 v11, v30, v0
	v_mul_lo_u32 v0, v0, s11
	v_add_u32_e32 v9, v31, v0
	ds_read2_b64 v[0:3], v9 offset1:1
	v_add_u32_e32 v12, -4, v18
	s_mov_b64 s[28:29], -1
	s_and_b64 vcc, exec, s[0:1]
	v_add_u32_e32 v22, -2, v18
	v_add_u32_e32 v28, -7, v18
	;; [unrolled: 1-line block ×4, first 2 shown]
	v_lshl_add_u64 v[24:25], v[12:13], 3, s[16:17]
	v_add_u32_e32 v12, -5, v18
	ds_write_b8 v11, v44
	s_waitcnt vmcnt(0) lgkmcnt(1)
	v_fmac_f64_e32 v[0:1], v[6:7], v[50:51]
	ds_write_b64 v9, v[0:1]
	v_add_u32_e32 v0, -3, v18
	s_cbranch_vccnz .LBB10_32
; %bb.31:                               ;   in Loop: Header=BB10_27 Depth=2
	v_lshl_add_u64 v[50:51], v[12:13], 3, s[16:17]
	v_mov_b32_e32 v23, v13
	v_mov_b32_e32 v29, v13
	;; [unrolled: 1-line block ×4, first 2 shown]
	v_lshl_add_u64 v[52:53], v[22:23], 3, s[16:17]
	v_lshl_add_u64 v[54:55], v[28:29], 3, s[16:17]
	global_load_dwordx2 v[62:63], v[24:25], off
	v_lshl_add_u64 v[56:57], v[20:21], 3, s[16:17]
	global_load_dwordx2 v[64:65], v[50:51], off
	global_load_dwordx2 v[66:67], v[52:53], off
	;; [unrolled: 1-line block ×4, first 2 shown]
	v_lshl_add_u64 v[50:51], v[26:27], 3, s[16:17]
	v_mov_b32_e32 v1, v13
	v_mov_b32_e32 v19, v13
	v_lshl_add_u64 v[52:53], v[0:1], 3, s[16:17]
	v_lshl_add_u64 v[54:55], v[18:19], 3, s[16:17]
	global_load_dwordx2 v[72:73], v[50:51], off
	global_load_dwordx2 v[74:75], v[52:53], off
	;; [unrolled: 1-line block ×3, first 2 shown]
	ds_read2_b64 v[50:53], v9 offset0:4 offset1:5
	ds_read2_b64 v[54:57], v9 offset0:2 offset1:3
	;; [unrolled: 1-line block ×3, first 2 shown]
	ds_read_b64 v[78:79], v9 offset:64
	s_mov_b64 s[28:29], 0
	s_waitcnt vmcnt(5) lgkmcnt(2)
	v_fmac_f64_e32 v[54:55], v[6:7], v[66:67]
	v_fmac_f64_e32 v[50:51], v[6:7], v[62:63]
	v_fma_f64 v[62:63], v[6:7], v[64:65], v[2:3]
	s_waitcnt vmcnt(4)
	v_fmac_f64_e32 v[56:57], v[6:7], v[68:69]
	s_waitcnt vmcnt(3)
	v_fmac_f64_e32 v[52:53], v[6:7], v[70:71]
	s_waitcnt vmcnt(2) lgkmcnt(1)
	v_fmac_f64_e32 v[58:59], v[6:7], v[72:73]
	s_waitcnt vmcnt(1)
	v_fmac_f64_e32 v[60:61], v[6:7], v[74:75]
	s_waitcnt vmcnt(0) lgkmcnt(0)
	v_fmac_f64_e32 v[78:79], v[6:7], v[76:77]
	ds_write2_b64 v9, v[62:63], v[54:55] offset0:1 offset1:2
	ds_write2_b64 v9, v[56:57], v[50:51] offset0:3 offset1:4
	;; [unrolled: 1-line block ×4, first 2 shown]
.LBB10_32:                              ;   in Loop: Header=BB10_27 Depth=2
	s_andn2_b64 vcc, exec, s[28:29]
	s_cbranch_vccnz .LBB10_34
; %bb.33:                               ;   in Loop: Header=BB10_27 Depth=2
	v_mov_b32_e32 v29, v13
	v_mov_b32_e32 v1, v13
	v_lshl_add_u64 v[28:29], v[28:29], 3, s[16:17]
	v_mov_b32_e32 v27, v13
	v_lshl_add_u64 v[0:1], v[0:1], 3, s[16:17]
	;; [unrolled: 2-line block ×3, first 2 shown]
	v_lshl_add_u64 v[50:51], v[12:13], 3, s[16:17]
	global_load_dwordx2 v[54:55], v[24:25], off
	global_load_dwordx2 v[56:57], v[28:29], off
	;; [unrolled: 1-line block ×5, first 2 shown]
	v_lshl_add_u64 v[0:1], v[22:23], 3, s[16:17]
	v_mov_b32_e32 v21, v13
	v_mov_b32_e32 v19, v13
	v_lshl_add_u64 v[20:21], v[20:21], 3, s[16:17]
	v_lshl_add_u64 v[22:23], v[18:19], 3, s[16:17]
	global_load_dwordx2 v[28:29], v[0:1], off
	global_load_dwordx2 v[64:65], v[20:21], off
	;; [unrolled: 1-line block ×3, first 2 shown]
	ds_read2_b64 v[20:23], v9 offset0:4 offset1:5
	ds_read2_b64 v[24:27], v9 offset0:2 offset1:3
	;; [unrolled: 1-line block ×3, first 2 shown]
	ds_read_b64 v[0:1], v9 offset:64
	s_waitcnt vmcnt(6)
	v_fmac_f64_e32 v[2:3], v[6:7], v[56:57]
	s_waitcnt vmcnt(5) lgkmcnt(2)
	v_fmac_f64_e32 v[24:25], v[6:7], v[58:59]
	v_fmac_f64_e32 v[20:21], v[6:7], v[54:55]
	s_waitcnt vmcnt(4)
	v_fmac_f64_e32 v[26:27], v[6:7], v[60:61]
	s_waitcnt vmcnt(3)
	v_fmac_f64_e32 v[22:23], v[6:7], v[62:63]
	s_waitcnt vmcnt(2) lgkmcnt(1)
	v_fmac_f64_e32 v[50:51], v[6:7], v[28:29]
	s_waitcnt vmcnt(1)
	v_fmac_f64_e32 v[52:53], v[6:7], v[64:65]
	s_waitcnt vmcnt(0) lgkmcnt(0)
	v_fmac_f64_e32 v[0:1], v[6:7], v[66:67]
	v_mov_b32_e32 v28, v50
	v_mov_b32_e32 v29, v51
	v_mov_b32_e32 v50, v52
	v_mov_b32_e32 v51, v53
	ds_write2_b64 v9, v[2:3], v[24:25] offset0:1 offset1:2
	ds_write2_b64 v9, v[26:27], v[20:21] offset0:3 offset1:4
	;; [unrolled: 1-line block ×4, first 2 shown]
.LBB10_34:                              ;   in Loop: Header=BB10_27 Depth=2
	s_or_b64 exec, exec, s[26:27]
	s_mov_b64 s[26:27], -1
	s_and_saveexec_b64 s[28:29], s[2:3]
	s_cbranch_execz .LBB10_26
; %bb.35:                               ;   in Loop: Header=BB10_27 Depth=2
	v_add_u32_e32 v10, 32, v10
	v_cmp_ge_i32_e32 vcc, v10, v33
	v_add_u32_e32 v18, 0x120, v18
	s_orn2_b64 s[26:27], vcc, exec
	s_branch .LBB10_26
.LBB10_36:                              ;   in Loop: Header=BB10_11 Depth=1
	s_or_b64 exec, exec, s[24:25]
.LBB10_37:                              ;   in Loop: Header=BB10_11 Depth=1
	s_or_b64 exec, exec, s[8:9]
	s_waitcnt lgkmcnt(0)
	ds_read_u8 v0, v43
	s_waitcnt lgkmcnt(0)
	v_and_b32_e32 v1, 1, v0
	v_cmp_eq_u32_e64 s[2:3], 1, v1
	v_cmp_ne_u16_e32 vcc, 0, v0
	s_and_saveexec_b64 s[8:9], s[2:3]
	s_cbranch_execz .LBB10_10
; %bb.38:                               ;   in Loop: Header=BB10_11 Depth=1
	v_and_b32_e32 v0, vcc_lo, v36
	v_bcnt_u32_b32 v0, v0, 0
	v_add3_u32 v18, v34, v0, -1
	ds_read2_b64 v[0:3], v35 offset1:4
	v_ashrrev_i32_e32 v19, 31, v18
	v_lshl_add_u32 v12, v18, 3, v18
	v_add_u32_e32 v9, v37, v45
	v_lshl_add_u64 v[20:21], v[18:19], 2, s[20:21]
	v_lshl_add_u64 v[18:19], v[12:13], 3, s[22:23]
	global_store_dword v[20:21], v9, off
	s_waitcnt lgkmcnt(0)
	global_store_dwordx2 v[18:19], v[0:1], off
	v_add_u32_e32 v9, s30, v35
	v_add_u32_e32 v11, s31, v35
	ds_read_b64 v[52:53], v9
	ds_read_b64 v[54:55], v11
	v_add_u32_e32 v0, 1, v12
	v_mov_b32_e32 v1, v13
	v_lshl_add_u64 v[0:1], v[0:1], 3, s[22:23]
	v_add_u32_e32 v18, 2, v12
	v_mov_b32_e32 v19, v13
	v_add_u32_e32 v9, s33, v35
	v_lshl_add_u64 v[18:19], v[18:19], 3, s[22:23]
	ds_read_b64 v[56:57], v9
	ds_read_b64 v[58:59], v35 offset:64
	s_waitcnt lgkmcnt(3)
	global_store_dwordx2 v[0:1], v[52:53], off
	s_waitcnt lgkmcnt(2)
	global_store_dwordx2 v[18:19], v[54:55], off
	v_add_u32_e32 v0, s34, v35
	v_add_u32_e32 v9, s35, v35
	;; [unrolled: 1-line block ×3, first 2 shown]
	ds_read_b64 v[0:1], v0
	ds_read_b64 v[18:19], v9
	ds_read_b64 v[52:53], v11
	v_add_u32_e32 v20, 3, v12
	v_mov_b32_e32 v21, v13
	v_lshl_add_u64 v[20:21], v[20:21], 3, s[22:23]
	v_add_u32_e32 v22, 4, v12
	v_mov_b32_e32 v23, v13
	v_add_u32_e32 v24, 5, v12
	v_mov_b32_e32 v25, v13
	;; [unrolled: 2-line block ×4, first 2 shown]
	v_add_u32_e32 v12, 8, v12
	v_lshl_add_u64 v[22:23], v[22:23], 3, s[22:23]
	v_lshl_add_u64 v[24:25], v[24:25], 3, s[22:23]
	;; [unrolled: 1-line block ×5, first 2 shown]
	s_waitcnt lgkmcnt(4)
	global_store_dwordx2 v[20:21], v[56:57], off
	global_store_dwordx2 v[22:23], v[2:3], off
	s_waitcnt lgkmcnt(2)
	global_store_dwordx2 v[24:25], v[0:1], off
	s_waitcnt lgkmcnt(1)
	;; [unrolled: 2-line block ×3, first 2 shown]
	global_store_dwordx2 v[28:29], v[52:53], off
	global_store_dwordx2 v[50:51], v[58:59], off
	s_branch .LBB10_10
.LBB10_39:
	s_endpgm
	.section	.rodata,"a",@progbits
	.p2align	6, 0x0
	.amdhsa_kernel _ZN9rocsparseL39bsrgeam_wf_per_row_multipass_2_3_kernelILj256ELj3ELj32EdEEv20rocsparse_direction_iiiNS_24const_host_device_scalarIT2_EEPKiS6_PKS3_S4_S6_S6_S8_S6_PiPS3_21rocsparse_index_base_SB_SB_b
		.amdhsa_group_segment_fixed_size 18688
		.amdhsa_private_segment_fixed_size 0
		.amdhsa_kernarg_size 120
		.amdhsa_user_sgpr_count 2
		.amdhsa_user_sgpr_dispatch_ptr 0
		.amdhsa_user_sgpr_queue_ptr 0
		.amdhsa_user_sgpr_kernarg_segment_ptr 1
		.amdhsa_user_sgpr_dispatch_id 0
		.amdhsa_user_sgpr_kernarg_preload_length 0
		.amdhsa_user_sgpr_kernarg_preload_offset 0
		.amdhsa_user_sgpr_private_segment_size 0
		.amdhsa_uses_dynamic_stack 0
		.amdhsa_enable_private_segment 0
		.amdhsa_system_sgpr_workgroup_id_x 1
		.amdhsa_system_sgpr_workgroup_id_y 0
		.amdhsa_system_sgpr_workgroup_id_z 0
		.amdhsa_system_sgpr_workgroup_info 0
		.amdhsa_system_vgpr_workitem_id 0
		.amdhsa_next_free_vgpr 80
		.amdhsa_next_free_sgpr 37
		.amdhsa_accum_offset 80
		.amdhsa_reserve_vcc 1
		.amdhsa_float_round_mode_32 0
		.amdhsa_float_round_mode_16_64 0
		.amdhsa_float_denorm_mode_32 3
		.amdhsa_float_denorm_mode_16_64 3
		.amdhsa_dx10_clamp 1
		.amdhsa_ieee_mode 1
		.amdhsa_fp16_overflow 0
		.amdhsa_tg_split 0
		.amdhsa_exception_fp_ieee_invalid_op 0
		.amdhsa_exception_fp_denorm_src 0
		.amdhsa_exception_fp_ieee_div_zero 0
		.amdhsa_exception_fp_ieee_overflow 0
		.amdhsa_exception_fp_ieee_underflow 0
		.amdhsa_exception_fp_ieee_inexact 0
		.amdhsa_exception_int_div_zero 0
	.end_amdhsa_kernel
	.section	.text._ZN9rocsparseL39bsrgeam_wf_per_row_multipass_2_3_kernelILj256ELj3ELj32EdEEv20rocsparse_direction_iiiNS_24const_host_device_scalarIT2_EEPKiS6_PKS3_S4_S6_S6_S8_S6_PiPS3_21rocsparse_index_base_SB_SB_b,"axG",@progbits,_ZN9rocsparseL39bsrgeam_wf_per_row_multipass_2_3_kernelILj256ELj3ELj32EdEEv20rocsparse_direction_iiiNS_24const_host_device_scalarIT2_EEPKiS6_PKS3_S4_S6_S6_S8_S6_PiPS3_21rocsparse_index_base_SB_SB_b,comdat
.Lfunc_end10:
	.size	_ZN9rocsparseL39bsrgeam_wf_per_row_multipass_2_3_kernelILj256ELj3ELj32EdEEv20rocsparse_direction_iiiNS_24const_host_device_scalarIT2_EEPKiS6_PKS3_S4_S6_S6_S8_S6_PiPS3_21rocsparse_index_base_SB_SB_b, .Lfunc_end10-_ZN9rocsparseL39bsrgeam_wf_per_row_multipass_2_3_kernelILj256ELj3ELj32EdEEv20rocsparse_direction_iiiNS_24const_host_device_scalarIT2_EEPKiS6_PKS3_S4_S6_S6_S8_S6_PiPS3_21rocsparse_index_base_SB_SB_b
                                        ; -- End function
	.set _ZN9rocsparseL39bsrgeam_wf_per_row_multipass_2_3_kernelILj256ELj3ELj32EdEEv20rocsparse_direction_iiiNS_24const_host_device_scalarIT2_EEPKiS6_PKS3_S4_S6_S6_S8_S6_PiPS3_21rocsparse_index_base_SB_SB_b.num_vgpr, 80
	.set _ZN9rocsparseL39bsrgeam_wf_per_row_multipass_2_3_kernelILj256ELj3ELj32EdEEv20rocsparse_direction_iiiNS_24const_host_device_scalarIT2_EEPKiS6_PKS3_S4_S6_S6_S8_S6_PiPS3_21rocsparse_index_base_SB_SB_b.num_agpr, 0
	.set _ZN9rocsparseL39bsrgeam_wf_per_row_multipass_2_3_kernelILj256ELj3ELj32EdEEv20rocsparse_direction_iiiNS_24const_host_device_scalarIT2_EEPKiS6_PKS3_S4_S6_S6_S8_S6_PiPS3_21rocsparse_index_base_SB_SB_b.numbered_sgpr, 37
	.set _ZN9rocsparseL39bsrgeam_wf_per_row_multipass_2_3_kernelILj256ELj3ELj32EdEEv20rocsparse_direction_iiiNS_24const_host_device_scalarIT2_EEPKiS6_PKS3_S4_S6_S6_S8_S6_PiPS3_21rocsparse_index_base_SB_SB_b.num_named_barrier, 0
	.set _ZN9rocsparseL39bsrgeam_wf_per_row_multipass_2_3_kernelILj256ELj3ELj32EdEEv20rocsparse_direction_iiiNS_24const_host_device_scalarIT2_EEPKiS6_PKS3_S4_S6_S6_S8_S6_PiPS3_21rocsparse_index_base_SB_SB_b.private_seg_size, 0
	.set _ZN9rocsparseL39bsrgeam_wf_per_row_multipass_2_3_kernelILj256ELj3ELj32EdEEv20rocsparse_direction_iiiNS_24const_host_device_scalarIT2_EEPKiS6_PKS3_S4_S6_S6_S8_S6_PiPS3_21rocsparse_index_base_SB_SB_b.uses_vcc, 1
	.set _ZN9rocsparseL39bsrgeam_wf_per_row_multipass_2_3_kernelILj256ELj3ELj32EdEEv20rocsparse_direction_iiiNS_24const_host_device_scalarIT2_EEPKiS6_PKS3_S4_S6_S6_S8_S6_PiPS3_21rocsparse_index_base_SB_SB_b.uses_flat_scratch, 0
	.set _ZN9rocsparseL39bsrgeam_wf_per_row_multipass_2_3_kernelILj256ELj3ELj32EdEEv20rocsparse_direction_iiiNS_24const_host_device_scalarIT2_EEPKiS6_PKS3_S4_S6_S6_S8_S6_PiPS3_21rocsparse_index_base_SB_SB_b.has_dyn_sized_stack, 0
	.set _ZN9rocsparseL39bsrgeam_wf_per_row_multipass_2_3_kernelILj256ELj3ELj32EdEEv20rocsparse_direction_iiiNS_24const_host_device_scalarIT2_EEPKiS6_PKS3_S4_S6_S6_S8_S6_PiPS3_21rocsparse_index_base_SB_SB_b.has_recursion, 0
	.set _ZN9rocsparseL39bsrgeam_wf_per_row_multipass_2_3_kernelILj256ELj3ELj32EdEEv20rocsparse_direction_iiiNS_24const_host_device_scalarIT2_EEPKiS6_PKS3_S4_S6_S6_S8_S6_PiPS3_21rocsparse_index_base_SB_SB_b.has_indirect_call, 0
	.section	.AMDGPU.csdata,"",@progbits
; Kernel info:
; codeLenInByte = 2884
; TotalNumSgprs: 43
; NumVgprs: 80
; NumAgprs: 0
; TotalNumVgprs: 80
; ScratchSize: 0
; MemoryBound: 0
; FloatMode: 240
; IeeeMode: 1
; LDSByteSize: 18688 bytes/workgroup (compile time only)
; SGPRBlocks: 5
; VGPRBlocks: 9
; NumSGPRsForWavesPerEU: 43
; NumVGPRsForWavesPerEU: 80
; AccumOffset: 80
; Occupancy: 6
; WaveLimiterHint : 1
; COMPUTE_PGM_RSRC2:SCRATCH_EN: 0
; COMPUTE_PGM_RSRC2:USER_SGPR: 2
; COMPUTE_PGM_RSRC2:TRAP_HANDLER: 0
; COMPUTE_PGM_RSRC2:TGID_X_EN: 1
; COMPUTE_PGM_RSRC2:TGID_Y_EN: 0
; COMPUTE_PGM_RSRC2:TGID_Z_EN: 0
; COMPUTE_PGM_RSRC2:TIDIG_COMP_CNT: 0
; COMPUTE_PGM_RSRC3_GFX90A:ACCUM_OFFSET: 19
; COMPUTE_PGM_RSRC3_GFX90A:TG_SPLIT: 0
	.section	.text._ZN9rocsparseL39bsrgeam_wf_per_row_multipass_2_3_kernelILj256ELj3ELj64EdEEv20rocsparse_direction_iiiNS_24const_host_device_scalarIT2_EEPKiS6_PKS3_S4_S6_S6_S8_S6_PiPS3_21rocsparse_index_base_SB_SB_b,"axG",@progbits,_ZN9rocsparseL39bsrgeam_wf_per_row_multipass_2_3_kernelILj256ELj3ELj64EdEEv20rocsparse_direction_iiiNS_24const_host_device_scalarIT2_EEPKiS6_PKS3_S4_S6_S6_S8_S6_PiPS3_21rocsparse_index_base_SB_SB_b,comdat
	.globl	_ZN9rocsparseL39bsrgeam_wf_per_row_multipass_2_3_kernelILj256ELj3ELj64EdEEv20rocsparse_direction_iiiNS_24const_host_device_scalarIT2_EEPKiS6_PKS3_S4_S6_S6_S8_S6_PiPS3_21rocsparse_index_base_SB_SB_b ; -- Begin function _ZN9rocsparseL39bsrgeam_wf_per_row_multipass_2_3_kernelILj256ELj3ELj64EdEEv20rocsparse_direction_iiiNS_24const_host_device_scalarIT2_EEPKiS6_PKS3_S4_S6_S6_S8_S6_PiPS3_21rocsparse_index_base_SB_SB_b
	.p2align	8
	.type	_ZN9rocsparseL39bsrgeam_wf_per_row_multipass_2_3_kernelILj256ELj3ELj64EdEEv20rocsparse_direction_iiiNS_24const_host_device_scalarIT2_EEPKiS6_PKS3_S4_S6_S6_S8_S6_PiPS3_21rocsparse_index_base_SB_SB_b,@function
_ZN9rocsparseL39bsrgeam_wf_per_row_multipass_2_3_kernelILj256ELj3ELj64EdEEv20rocsparse_direction_iiiNS_24const_host_device_scalarIT2_EEPKiS6_PKS3_S4_S6_S6_S8_S6_PiPS3_21rocsparse_index_base_SB_SB_b: ; @_ZN9rocsparseL39bsrgeam_wf_per_row_multipass_2_3_kernelILj256ELj3ELj64EdEEv20rocsparse_direction_iiiNS_24const_host_device_scalarIT2_EEPKiS6_PKS3_S4_S6_S6_S8_S6_PiPS3_21rocsparse_index_base_SB_SB_b
; %bb.0:
	s_load_dwordx4 s[4:7], s[0:1], 0x68
	s_load_dwordx2 s[12:13], s[0:1], 0x10
	s_load_dwordx2 s[8:9], s[0:1], 0x30
	s_waitcnt lgkmcnt(0)
	s_bitcmp1_b32 s7, 0
	s_cselect_b64 s[14:15], -1, 0
	s_xor_b64 s[10:11], s[14:15], -1
	s_and_b64 vcc, exec, s[14:15]
	v_mov_b64_e32 v[4:5], s[12:13]
	s_cbranch_vccnz .LBB11_2
; %bb.1:
	v_mov_b64_e32 v[2:3], s[12:13]
	flat_load_dwordx2 v[4:5], v[2:3]
.LBB11_2:
	s_andn2_b64 vcc, exec, s[10:11]
	v_mov_b64_e32 v[6:7], s[8:9]
	s_cbranch_vccnz .LBB11_4
; %bb.3:
	v_mov_b64_e32 v[2:3], s[8:9]
	flat_load_dwordx2 v[6:7], v[2:3]
.LBB11_4:
	s_load_dwordx4 s[8:11], s[0:1], 0x0
	s_lshl_b32 s2, s2, 2
	v_lshrrev_b32_e32 v1, 6, v0
	s_and_b32 s2, s2, 0x3fffffc
	v_or_b32_e32 v2, s2, v1
	s_waitcnt lgkmcnt(0)
	v_cmp_gt_i32_e32 vcc, s9, v2
	s_and_saveexec_b64 s[2:3], vcc
	s_cbranch_execz .LBB11_39
; %bb.5:
	s_load_dwordx4 s[12:15], s[0:1], 0x18
	s_load_dwordx4 s[16:19], s[0:1], 0x38
	s_load_dwordx2 s[2:3], s[0:1], 0x50
	v_lshlrev_b32_e32 v10, 2, v2
	s_waitcnt lgkmcnt(0)
	global_load_dwordx2 v[2:3], v10, s[12:13]
	global_load_dwordx2 v[8:9], v10, s[16:17]
	global_load_dword v14, v10, s[2:3]
	s_waitcnt vmcnt(0)
	v_subrev_u32_e32 v10, s4, v2
	v_cmp_lt_i32_e32 vcc, v2, v3
	v_mov_b32_e32 v2, s10
	s_and_saveexec_b64 s[2:3], vcc
	s_cbranch_execz .LBB11_7
; %bb.6:
	v_ashrrev_i32_e32 v11, 31, v10
	v_lshl_add_u64 v[12:13], v[10:11], 2, s[14:15]
	global_load_dword v2, v[12:13], off
	s_waitcnt vmcnt(0)
	v_subrev_u32_e32 v2, s4, v2
.LBB11_7:
	s_or_b64 exec, exec, s[2:3]
	s_load_dwordx4 s[20:23], s[0:1], 0x58
	s_load_dwordx2 s[12:13], s[0:1], 0x28
	s_load_dwordx2 s[16:17], s[0:1], 0x48
	v_subrev_u32_e32 v12, s5, v8
	v_cmp_lt_i32_e32 vcc, v8, v9
	v_mov_b32_e32 v8, s10
	s_and_saveexec_b64 s[0:1], vcc
	s_cbranch_execz .LBB11_9
; %bb.8:
	v_ashrrev_i32_e32 v13, 31, v12
	v_lshl_add_u64 v[16:17], v[12:13], 2, s[18:19]
	global_load_dword v8, v[16:17], off
	s_waitcnt vmcnt(0)
	v_subrev_u32_e32 v8, s5, v8
.LBB11_9:
	s_or_b64 exec, exec, s[0:1]
	v_subrev_u32_e32 v34, s4, v3
	v_and_b32_e32 v3, 63, v0
	s_movk_i32 s0, 0x1200
	v_min_i32_e32 v47, v8, v2
	v_mul_u32_u24_e32 v2, 0x48, v3
	v_mul_u32_u24_e32 v33, 0x1200, v1
	v_mad_u32_u24 v37, v1, s0, v2
	v_mbcnt_lo_u32_b32 v1, -1, 0
	v_mbcnt_hi_u32_b32 v1, -1, v1
	v_and_b32_e32 v11, 0xc0, v0
	v_and_b32_e32 v2, 64, v1
	v_bitop3_b32 v0, v0, 63, v0 bitop3:0xc
	v_subrev_u32_e32 v36, s6, v14
	v_add_u32_e32 v2, 64, v2
	v_lshrrev_b64 v[14:15], v0, -1
	v_xor_b32_e32 v0, 32, v1
	v_cmp_lt_i32_e32 vcc, v0, v2
	s_cmp_lg_u32 s8, 0
	s_mov_b32 s0, 0
	v_cndmask_b32_e32 v0, v1, v0, vcc
	v_lshlrev_b32_e32 v39, 2, v0
	v_xor_b32_e32 v0, 16, v1
	v_cmp_lt_i32_e32 vcc, v0, v2
	s_cselect_b64 s[2:3], -1, 0
	v_or_b32_e32 v32, 0x4800, v11
	v_cndmask_b32_e32 v0, v1, v0, vcc
	v_lshlrev_b32_e32 v40, 2, v0
	v_xor_b32_e32 v0, 8, v1
	v_cmp_lt_i32_e32 vcc, v0, v2
	v_mov_b32_e32 v13, 0
	s_cmp_eq_u32 s8, 0
	v_cndmask_b32_e32 v0, v1, v0, vcc
	v_lshlrev_b32_e32 v41, 2, v0
	v_xor_b32_e32 v0, 4, v1
	v_cmp_lt_i32_e32 vcc, v0, v2
	s_mov_b32 s1, s0
	s_mov_b32 s8, s0
	v_cndmask_b32_e32 v0, v1, v0, vcc
	v_lshlrev_b32_e32 v42, 2, v0
	v_xor_b32_e32 v0, 2, v1
	v_cmp_lt_i32_e32 vcc, v0, v2
	s_mov_b32 s9, s0
	v_subrev_u32_e32 v35, s5, v9
	v_cndmask_b32_e32 v0, v1, v0, vcc
	v_lshlrev_b32_e32 v43, 2, v0
	v_xor_b32_e32 v0, 1, v1
	v_cmp_lt_i32_e32 vcc, v0, v2
	v_add_u32_e32 v8, v10, v3
	v_add_u32_e32 v10, v12, v3
	v_cndmask_b32_e32 v0, v1, v0, vcc
	v_lshlrev_b32_e32 v44, 2, v0
	v_cndmask_b32_e64 v0, 0, 1, s[2:3]
	s_movk_i32 s11, 0x48
	v_add_u32_e32 v38, s6, v3
	s_cselect_b32 s30, 8, 24
	s_cselect_b32 s31, 16, 48
	;; [unrolled: 1-line block ×6, first 2 shown]
	s_mov_b64 s[6:7], 0
	v_add_u32_e32 v45, v32, v3
	v_mov_b64_e32 v[16:17], s[0:1]
	v_mov_b64_e32 v[18:19], s[8:9]
	v_mov_b32_e32 v50, v13
	v_mov_b32_e32 v51, v13
	;; [unrolled: 1-line block ×3, first 2 shown]
	v_cmp_ne_u32_e64 s[0:1], 1, v0
	s_branch .LBB11_11
.LBB11_10:                              ;   in Loop: Header=BB11_11 Depth=1
	s_or_b64 exec, exec, s[8:9]
	ds_bpermute_b32 v0, v39, v48
	s_bcnt1_i32_b64 s2, vcc
	v_add_u32_e32 v36, s2, v36
	s_waitcnt lgkmcnt(0)
	v_min_i32_e32 v0, v0, v48
	ds_bpermute_b32 v1, v40, v0
	s_waitcnt lgkmcnt(0)
	v_min_i32_e32 v0, v1, v0
	ds_bpermute_b32 v1, v41, v0
	;; [unrolled: 3-line block ×5, first 2 shown]
	s_waitcnt lgkmcnt(0)
	v_min_i32_e32 v47, v1, v0
	v_cmp_le_i32_e32 vcc, s10, v47
	s_or_b64 s[6:7], vcc, s[6:7]
	s_andn2_b64 exec, exec, s[6:7]
	s_cbranch_execz .LBB11_39
.LBB11_11:                              ; =>This Loop Header: Depth=1
                                        ;     Child Loop BB11_14 Depth 2
                                        ;     Child Loop BB11_27 Depth 2
	v_cmp_lt_i32_e32 vcc, v8, v34
	v_mov_b32_e32 v48, s10
	ds_write_b8 v45, v13
	ds_write2_b64 v37, v[16:17], v[18:19] offset1:1
	ds_write2_b64 v37, v[16:17], v[18:19] offset0:2 offset1:3
	ds_write2_b64 v37, v[16:17], v[18:19] offset0:4 offset1:5
	;; [unrolled: 1-line block ×3, first 2 shown]
	ds_write_b64 v37, v[50:51] offset:64
	s_waitcnt lgkmcnt(0)
	s_and_saveexec_b64 s[8:9], vcc
	s_cbranch_execz .LBB11_24
; %bb.12:                               ;   in Loop: Header=BB11_11 Depth=1
	v_mad_u64_u32 v[0:1], s[2:3], v8, 9, 8
	s_mov_b64 s[24:25], 0
	v_mov_b32_e32 v48, s10
	s_branch .LBB11_14
.LBB11_13:                              ;   in Loop: Header=BB11_14 Depth=2
	s_or_b64 exec, exec, s[28:29]
	s_and_b64 s[2:3], exec, s[26:27]
	s_or_b64 s[24:25], s[2:3], s[24:25]
	s_andn2_b64 exec, exec, s[24:25]
	s_cbranch_execz .LBB11_23
.LBB11_14:                              ;   Parent Loop BB11_11 Depth=1
                                        ; =>  This Inner Loop Header: Depth=2
	v_ashrrev_i32_e32 v9, 31, v8
	v_lshl_add_u64 v[2:3], v[8:9], 2, s[14:15]
	global_load_dword v1, v[2:3], off
	s_waitcnt vmcnt(0)
	v_subrev_u32_e32 v2, s4, v1
	v_sub_u32_e32 v1, v2, v47
	v_cmp_gt_u32_e64 s[2:3], 64, v1
	v_cmp_lt_u32_e32 vcc, 63, v1
	s_and_saveexec_b64 s[26:27], vcc
	s_xor_b64 s[26:27], exec, s[26:27]
; %bb.15:                               ;   in Loop: Header=BB11_14 Depth=2
	v_min_i32_e32 v48, v2, v48
                                        ; implicit-def: $vgpr1
; %bb.16:                               ;   in Loop: Header=BB11_14 Depth=2
	s_andn2_saveexec_b64 s[26:27], s[26:27]
	s_cbranch_execz .LBB11_21
; %bb.17:                               ;   in Loop: Header=BB11_14 Depth=2
	v_add_u32_e32 v12, -8, v0
	v_lshl_add_u64 v[2:3], v[12:13], 3, s[12:13]
	global_load_dwordx2 v[22:23], v[2:3], off
	v_add_u32_e32 v3, v32, v1
	v_mul_lo_u32 v1, v1, s11
	v_add_u32_e32 v9, v33, v1
	v_add_u32_e32 v12, -4, v0
	s_mov_b64 s[28:29], -1
	s_and_b64 vcc, exec, s[0:1]
	v_add_u32_e32 v20, -2, v0
	v_add_u32_e32 v28, -7, v0
	;; [unrolled: 1-line block ×4, first 2 shown]
	v_lshl_add_u64 v[24:25], v[12:13], 3, s[12:13]
	v_add_u32_e32 v12, -5, v0
	ds_write_b8 v3, v46
	s_waitcnt vmcnt(0)
	v_mul_f64 v[22:23], v[4:5], v[22:23]
	ds_write_b64 v9, v[22:23]
	v_add_u32_e32 v22, -3, v0
	s_cbranch_vccnz .LBB11_19
; %bb.18:                               ;   in Loop: Header=BB11_14 Depth=2
	v_lshl_add_u64 v[30:31], v[12:13], 3, s[12:13]
	v_mov_b32_e32 v21, v13
	v_mov_b32_e32 v29, v13
	;; [unrolled: 1-line block ×3, first 2 shown]
	v_lshl_add_u64 v[52:53], v[20:21], 3, s[12:13]
	v_lshl_add_u64 v[54:55], v[28:29], 3, s[12:13]
	global_load_dwordx2 v[56:57], v[30:31], off
	global_load_dwordx2 v[58:59], v[52:53], off
	global_load_dwordx2 v[60:61], v[54:55], off
	global_load_dwordx2 v[62:63], v[24:25], off
	v_lshl_add_u64 v[30:31], v[2:3], 3, s[12:13]
	v_mov_b32_e32 v27, v13
	v_mov_b32_e32 v23, v13
	;; [unrolled: 1-line block ×3, first 2 shown]
	v_lshl_add_u64 v[52:53], v[26:27], 3, s[12:13]
	v_lshl_add_u64 v[54:55], v[22:23], 3, s[12:13]
	;; [unrolled: 1-line block ×3, first 2 shown]
	global_load_dwordx2 v[66:67], v[30:31], off
	global_load_dwordx2 v[68:69], v[52:53], off
	;; [unrolled: 1-line block ×4, first 2 shown]
	s_mov_b64 s[28:29], 0
	s_waitcnt vmcnt(7)
	v_mul_f64 v[30:31], v[4:5], v[56:57]
	s_waitcnt vmcnt(6)
	v_mul_f64 v[52:53], v[4:5], v[58:59]
	;; [unrolled: 2-line block ×8, first 2 shown]
	ds_write2_b64 v9, v[30:31], v[52:53] offset0:1 offset1:2
	ds_write2_b64 v9, v[54:55], v[56:57] offset0:3 offset1:4
	;; [unrolled: 1-line block ×4, first 2 shown]
.LBB11_19:                              ;   in Loop: Header=BB11_14 Depth=2
	s_andn2_b64 vcc, exec, s[28:29]
	s_cbranch_vccnz .LBB11_21
; %bb.20:                               ;   in Loop: Header=BB11_14 Depth=2
	v_mov_b32_e32 v29, v13
	v_mov_b32_e32 v27, v13
	;; [unrolled: 1-line block ×3, first 2 shown]
	v_lshl_add_u64 v[28:29], v[28:29], 3, s[12:13]
	v_lshl_add_u64 v[26:27], v[26:27], 3, s[12:13]
	;; [unrolled: 1-line block ×4, first 2 shown]
	v_mov_b32_e32 v21, v13
	v_mov_b32_e32 v3, v13
	v_mov_b32_e32 v1, v13
	global_load_dwordx2 v[52:53], v[28:29], off
	global_load_dwordx2 v[54:55], v[26:27], off
	;; [unrolled: 1-line block ×4, first 2 shown]
	v_lshl_add_u64 v[20:21], v[20:21], 3, s[12:13]
	v_lshl_add_u64 v[2:3], v[2:3], 3, s[12:13]
	;; [unrolled: 1-line block ×3, first 2 shown]
	global_load_dwordx2 v[26:27], v[22:23], off
	global_load_dwordx2 v[28:29], v[20:21], off
	;; [unrolled: 1-line block ×4, first 2 shown]
	s_waitcnt vmcnt(7)
	v_mul_f64 v[2:3], v[4:5], v[52:53]
	s_waitcnt vmcnt(6)
	v_mul_f64 v[20:21], v[4:5], v[54:55]
	;; [unrolled: 2-line block ×8, first 2 shown]
	ds_write2_b64 v9, v[2:3], v[20:21] offset0:1 offset1:2
	ds_write2_b64 v9, v[22:23], v[24:25] offset0:3 offset1:4
	;; [unrolled: 1-line block ×4, first 2 shown]
.LBB11_21:                              ;   in Loop: Header=BB11_14 Depth=2
	s_or_b64 exec, exec, s[26:27]
	s_mov_b64 s[26:27], -1
	s_and_saveexec_b64 s[28:29], s[2:3]
	s_cbranch_execz .LBB11_13
; %bb.22:                               ;   in Loop: Header=BB11_14 Depth=2
	v_add_u32_e32 v8, 64, v8
	v_cmp_ge_i32_e32 vcc, v8, v34
	v_add_u32_e32 v0, 0x240, v0
	s_orn2_b64 s[26:27], vcc, exec
	s_branch .LBB11_13
.LBB11_23:                              ;   in Loop: Header=BB11_11 Depth=1
	s_or_b64 exec, exec, s[24:25]
.LBB11_24:                              ;   in Loop: Header=BB11_11 Depth=1
	s_or_b64 exec, exec, s[8:9]
	v_cmp_lt_i32_e32 vcc, v10, v35
	s_waitcnt lgkmcnt(0)
	s_and_saveexec_b64 s[8:9], vcc
	s_cbranch_execz .LBB11_37
; %bb.25:                               ;   in Loop: Header=BB11_11 Depth=1
	v_mad_u64_u32 v[20:21], s[2:3], v10, 9, 8
	s_mov_b64 s[24:25], 0
	s_branch .LBB11_27
.LBB11_26:                              ;   in Loop: Header=BB11_27 Depth=2
	s_or_b64 exec, exec, s[28:29]
	s_and_b64 s[2:3], exec, s[26:27]
	s_or_b64 s[24:25], s[2:3], s[24:25]
	s_andn2_b64 exec, exec, s[24:25]
	s_cbranch_execz .LBB11_36
.LBB11_27:                              ;   Parent Loop BB11_11 Depth=1
                                        ; =>  This Inner Loop Header: Depth=2
	v_ashrrev_i32_e32 v11, 31, v10
	v_lshl_add_u64 v[0:1], v[10:11], 2, s[18:19]
	global_load_dword v0, v[0:1], off
	s_waitcnt vmcnt(0)
	v_subrev_u32_e32 v1, s5, v0
	v_sub_u32_e32 v0, v1, v47
	v_cmp_gt_u32_e64 s[2:3], 64, v0
	v_cmp_lt_u32_e32 vcc, 63, v0
	s_and_saveexec_b64 s[26:27], vcc
	s_xor_b64 s[26:27], exec, s[26:27]
; %bb.28:                               ;   in Loop: Header=BB11_27 Depth=2
	v_min_i32_e32 v48, v1, v48
                                        ; implicit-def: $vgpr0
; %bb.29:                               ;   in Loop: Header=BB11_27 Depth=2
	s_andn2_saveexec_b64 s[26:27], s[26:27]
	s_cbranch_execz .LBB11_34
; %bb.30:                               ;   in Loop: Header=BB11_27 Depth=2
	v_add_u32_e32 v12, -8, v20
	v_lshl_add_u64 v[2:3], v[12:13], 3, s[16:17]
	global_load_dwordx2 v[52:53], v[2:3], off
	v_add_u32_e32 v11, v32, v0
	v_mul_lo_u32 v0, v0, s11
	v_add_u32_e32 v9, v33, v0
	ds_read2_b64 v[0:3], v9 offset1:1
	v_add_u32_e32 v12, -4, v20
	s_mov_b64 s[28:29], -1
	s_and_b64 vcc, exec, s[0:1]
	v_add_u32_e32 v24, -2, v20
	v_add_u32_e32 v30, -7, v20
	;; [unrolled: 1-line block ×4, first 2 shown]
	v_lshl_add_u64 v[26:27], v[12:13], 3, s[16:17]
	v_add_u32_e32 v12, -5, v20
	ds_write_b8 v11, v46
	s_waitcnt vmcnt(0) lgkmcnt(1)
	v_fmac_f64_e32 v[0:1], v[6:7], v[52:53]
	ds_write_b64 v9, v[0:1]
	v_add_u32_e32 v0, -3, v20
	s_cbranch_vccnz .LBB11_32
; %bb.31:                               ;   in Loop: Header=BB11_27 Depth=2
	v_lshl_add_u64 v[52:53], v[12:13], 3, s[16:17]
	v_mov_b32_e32 v25, v13
	v_mov_b32_e32 v31, v13
	;; [unrolled: 1-line block ×4, first 2 shown]
	v_lshl_add_u64 v[54:55], v[24:25], 3, s[16:17]
	v_lshl_add_u64 v[56:57], v[30:31], 3, s[16:17]
	global_load_dwordx2 v[64:65], v[26:27], off
	v_lshl_add_u64 v[58:59], v[22:23], 3, s[16:17]
	global_load_dwordx2 v[66:67], v[52:53], off
	global_load_dwordx2 v[68:69], v[54:55], off
	;; [unrolled: 1-line block ×4, first 2 shown]
	v_lshl_add_u64 v[52:53], v[28:29], 3, s[16:17]
	v_mov_b32_e32 v1, v13
	v_mov_b32_e32 v21, v13
	v_lshl_add_u64 v[54:55], v[0:1], 3, s[16:17]
	v_lshl_add_u64 v[56:57], v[20:21], 3, s[16:17]
	global_load_dwordx2 v[74:75], v[52:53], off
	global_load_dwordx2 v[76:77], v[54:55], off
	;; [unrolled: 1-line block ×3, first 2 shown]
	ds_read2_b64 v[52:55], v9 offset0:4 offset1:5
	ds_read2_b64 v[56:59], v9 offset0:2 offset1:3
	;; [unrolled: 1-line block ×3, first 2 shown]
	ds_read_b64 v[80:81], v9 offset:64
	s_mov_b64 s[28:29], 0
	s_waitcnt vmcnt(5) lgkmcnt(2)
	v_fmac_f64_e32 v[56:57], v[6:7], v[68:69]
	v_fmac_f64_e32 v[52:53], v[6:7], v[64:65]
	v_fma_f64 v[64:65], v[6:7], v[66:67], v[2:3]
	s_waitcnt vmcnt(4)
	v_fmac_f64_e32 v[58:59], v[6:7], v[70:71]
	s_waitcnt vmcnt(3)
	v_fmac_f64_e32 v[54:55], v[6:7], v[72:73]
	s_waitcnt vmcnt(2) lgkmcnt(1)
	v_fmac_f64_e32 v[60:61], v[6:7], v[74:75]
	s_waitcnt vmcnt(1)
	v_fmac_f64_e32 v[62:63], v[6:7], v[76:77]
	s_waitcnt vmcnt(0) lgkmcnt(0)
	v_fmac_f64_e32 v[80:81], v[6:7], v[78:79]
	ds_write2_b64 v9, v[64:65], v[56:57] offset0:1 offset1:2
	ds_write2_b64 v9, v[58:59], v[52:53] offset0:3 offset1:4
	ds_write2_b64 v9, v[54:55], v[60:61] offset0:5 offset1:6
	ds_write2_b64 v9, v[62:63], v[80:81] offset0:7 offset1:8
.LBB11_32:                              ;   in Loop: Header=BB11_27 Depth=2
	s_andn2_b64 vcc, exec, s[28:29]
	s_cbranch_vccnz .LBB11_34
; %bb.33:                               ;   in Loop: Header=BB11_27 Depth=2
	v_mov_b32_e32 v31, v13
	v_mov_b32_e32 v1, v13
	v_lshl_add_u64 v[30:31], v[30:31], 3, s[16:17]
	v_mov_b32_e32 v29, v13
	v_lshl_add_u64 v[0:1], v[0:1], 3, s[16:17]
	;; [unrolled: 2-line block ×3, first 2 shown]
	v_lshl_add_u64 v[52:53], v[12:13], 3, s[16:17]
	global_load_dwordx2 v[56:57], v[26:27], off
	global_load_dwordx2 v[58:59], v[30:31], off
	;; [unrolled: 1-line block ×5, first 2 shown]
	v_lshl_add_u64 v[0:1], v[24:25], 3, s[16:17]
	v_mov_b32_e32 v23, v13
	v_mov_b32_e32 v21, v13
	v_lshl_add_u64 v[22:23], v[22:23], 3, s[16:17]
	v_lshl_add_u64 v[24:25], v[20:21], 3, s[16:17]
	global_load_dwordx2 v[30:31], v[0:1], off
	global_load_dwordx2 v[66:67], v[22:23], off
	;; [unrolled: 1-line block ×3, first 2 shown]
	ds_read2_b64 v[22:25], v9 offset0:4 offset1:5
	ds_read2_b64 v[26:29], v9 offset0:2 offset1:3
	;; [unrolled: 1-line block ×3, first 2 shown]
	ds_read_b64 v[0:1], v9 offset:64
	s_waitcnt vmcnt(6)
	v_fmac_f64_e32 v[2:3], v[6:7], v[58:59]
	s_waitcnt vmcnt(5) lgkmcnt(2)
	v_fmac_f64_e32 v[26:27], v[6:7], v[60:61]
	v_fmac_f64_e32 v[22:23], v[6:7], v[56:57]
	s_waitcnt vmcnt(4)
	v_fmac_f64_e32 v[28:29], v[6:7], v[62:63]
	s_waitcnt vmcnt(3)
	v_fmac_f64_e32 v[24:25], v[6:7], v[64:65]
	s_waitcnt vmcnt(2) lgkmcnt(1)
	v_fmac_f64_e32 v[52:53], v[6:7], v[30:31]
	s_waitcnt vmcnt(1)
	v_fmac_f64_e32 v[54:55], v[6:7], v[66:67]
	s_waitcnt vmcnt(0) lgkmcnt(0)
	v_fmac_f64_e32 v[0:1], v[6:7], v[68:69]
	v_mov_b32_e32 v30, v52
	v_mov_b32_e32 v31, v53
	;; [unrolled: 1-line block ×4, first 2 shown]
	ds_write2_b64 v9, v[2:3], v[26:27] offset0:1 offset1:2
	ds_write2_b64 v9, v[28:29], v[22:23] offset0:3 offset1:4
	;; [unrolled: 1-line block ×4, first 2 shown]
.LBB11_34:                              ;   in Loop: Header=BB11_27 Depth=2
	s_or_b64 exec, exec, s[26:27]
	s_mov_b64 s[26:27], -1
	s_and_saveexec_b64 s[28:29], s[2:3]
	s_cbranch_execz .LBB11_26
; %bb.35:                               ;   in Loop: Header=BB11_27 Depth=2
	v_add_u32_e32 v10, 64, v10
	v_cmp_ge_i32_e32 vcc, v10, v35
	v_add_u32_e32 v20, 0x240, v20
	s_orn2_b64 s[26:27], vcc, exec
	s_branch .LBB11_26
.LBB11_36:                              ;   in Loop: Header=BB11_11 Depth=1
	s_or_b64 exec, exec, s[24:25]
.LBB11_37:                              ;   in Loop: Header=BB11_11 Depth=1
	s_or_b64 exec, exec, s[8:9]
	s_waitcnt lgkmcnt(0)
	ds_read_u8 v0, v45
	s_waitcnt lgkmcnt(0)
	v_and_b32_e32 v1, 1, v0
	v_cmp_eq_u32_e64 s[2:3], 1, v1
	v_cmp_ne_u16_e32 vcc, 0, v0
	s_and_saveexec_b64 s[8:9], s[2:3]
	s_cbranch_execz .LBB11_10
; %bb.38:                               ;   in Loop: Header=BB11_11 Depth=1
	v_and_b32_e32 v1, vcc_lo, v14
	v_and_b32_e32 v0, vcc_hi, v15
	v_bcnt_u32_b32 v1, v1, 0
	v_bcnt_u32_b32 v0, v0, v1
	v_add3_u32 v20, v36, v0, -1
	ds_read2_b64 v[0:3], v37 offset1:4
	v_ashrrev_i32_e32 v21, 31, v20
	v_lshl_add_u32 v12, v20, 3, v20
	v_add_u32_e32 v9, v38, v47
	v_lshl_add_u64 v[22:23], v[20:21], 2, s[20:21]
	v_lshl_add_u64 v[20:21], v[12:13], 3, s[22:23]
	global_store_dword v[22:23], v9, off
	s_waitcnt lgkmcnt(0)
	global_store_dwordx2 v[20:21], v[0:1], off
	v_add_u32_e32 v9, s30, v37
	v_add_u32_e32 v11, s31, v37
	ds_read_b64 v[54:55], v9
	ds_read_b64 v[56:57], v11
	v_add_u32_e32 v0, 1, v12
	v_mov_b32_e32 v1, v13
	v_lshl_add_u64 v[0:1], v[0:1], 3, s[22:23]
	v_add_u32_e32 v20, 2, v12
	v_mov_b32_e32 v21, v13
	v_add_u32_e32 v9, s33, v37
	v_lshl_add_u64 v[20:21], v[20:21], 3, s[22:23]
	ds_read_b64 v[58:59], v9
	ds_read_b64 v[60:61], v37 offset:64
	s_waitcnt lgkmcnt(3)
	global_store_dwordx2 v[0:1], v[54:55], off
	s_waitcnt lgkmcnt(2)
	global_store_dwordx2 v[20:21], v[56:57], off
	v_add_u32_e32 v0, s34, v37
	v_add_u32_e32 v9, s35, v37
	;; [unrolled: 1-line block ×3, first 2 shown]
	ds_read_b64 v[0:1], v0
	ds_read_b64 v[20:21], v9
	ds_read_b64 v[54:55], v11
	v_add_u32_e32 v22, 3, v12
	v_mov_b32_e32 v23, v13
	v_lshl_add_u64 v[22:23], v[22:23], 3, s[22:23]
	v_add_u32_e32 v24, 4, v12
	v_mov_b32_e32 v25, v13
	v_add_u32_e32 v26, 5, v12
	v_mov_b32_e32 v27, v13
	;; [unrolled: 2-line block ×4, first 2 shown]
	v_add_u32_e32 v12, 8, v12
	v_lshl_add_u64 v[24:25], v[24:25], 3, s[22:23]
	v_lshl_add_u64 v[26:27], v[26:27], 3, s[22:23]
	;; [unrolled: 1-line block ×5, first 2 shown]
	s_waitcnt lgkmcnt(4)
	global_store_dwordx2 v[22:23], v[58:59], off
	global_store_dwordx2 v[24:25], v[2:3], off
	s_waitcnt lgkmcnt(2)
	global_store_dwordx2 v[26:27], v[0:1], off
	s_waitcnt lgkmcnt(1)
	;; [unrolled: 2-line block ×3, first 2 shown]
	global_store_dwordx2 v[30:31], v[54:55], off
	global_store_dwordx2 v[52:53], v[60:61], off
	s_branch .LBB11_10
.LBB11_39:
	s_endpgm
	.section	.rodata,"a",@progbits
	.p2align	6, 0x0
	.amdhsa_kernel _ZN9rocsparseL39bsrgeam_wf_per_row_multipass_2_3_kernelILj256ELj3ELj64EdEEv20rocsparse_direction_iiiNS_24const_host_device_scalarIT2_EEPKiS6_PKS3_S4_S6_S6_S8_S6_PiPS3_21rocsparse_index_base_SB_SB_b
		.amdhsa_group_segment_fixed_size 18688
		.amdhsa_private_segment_fixed_size 0
		.amdhsa_kernarg_size 120
		.amdhsa_user_sgpr_count 2
		.amdhsa_user_sgpr_dispatch_ptr 0
		.amdhsa_user_sgpr_queue_ptr 0
		.amdhsa_user_sgpr_kernarg_segment_ptr 1
		.amdhsa_user_sgpr_dispatch_id 0
		.amdhsa_user_sgpr_kernarg_preload_length 0
		.amdhsa_user_sgpr_kernarg_preload_offset 0
		.amdhsa_user_sgpr_private_segment_size 0
		.amdhsa_uses_dynamic_stack 0
		.amdhsa_enable_private_segment 0
		.amdhsa_system_sgpr_workgroup_id_x 1
		.amdhsa_system_sgpr_workgroup_id_y 0
		.amdhsa_system_sgpr_workgroup_id_z 0
		.amdhsa_system_sgpr_workgroup_info 0
		.amdhsa_system_vgpr_workitem_id 0
		.amdhsa_next_free_vgpr 82
		.amdhsa_next_free_sgpr 37
		.amdhsa_accum_offset 84
		.amdhsa_reserve_vcc 1
		.amdhsa_float_round_mode_32 0
		.amdhsa_float_round_mode_16_64 0
		.amdhsa_float_denorm_mode_32 3
		.amdhsa_float_denorm_mode_16_64 3
		.amdhsa_dx10_clamp 1
		.amdhsa_ieee_mode 1
		.amdhsa_fp16_overflow 0
		.amdhsa_tg_split 0
		.amdhsa_exception_fp_ieee_invalid_op 0
		.amdhsa_exception_fp_denorm_src 0
		.amdhsa_exception_fp_ieee_div_zero 0
		.amdhsa_exception_fp_ieee_overflow 0
		.amdhsa_exception_fp_ieee_underflow 0
		.amdhsa_exception_fp_ieee_inexact 0
		.amdhsa_exception_int_div_zero 0
	.end_amdhsa_kernel
	.section	.text._ZN9rocsparseL39bsrgeam_wf_per_row_multipass_2_3_kernelILj256ELj3ELj64EdEEv20rocsparse_direction_iiiNS_24const_host_device_scalarIT2_EEPKiS6_PKS3_S4_S6_S6_S8_S6_PiPS3_21rocsparse_index_base_SB_SB_b,"axG",@progbits,_ZN9rocsparseL39bsrgeam_wf_per_row_multipass_2_3_kernelILj256ELj3ELj64EdEEv20rocsparse_direction_iiiNS_24const_host_device_scalarIT2_EEPKiS6_PKS3_S4_S6_S6_S8_S6_PiPS3_21rocsparse_index_base_SB_SB_b,comdat
.Lfunc_end11:
	.size	_ZN9rocsparseL39bsrgeam_wf_per_row_multipass_2_3_kernelILj256ELj3ELj64EdEEv20rocsparse_direction_iiiNS_24const_host_device_scalarIT2_EEPKiS6_PKS3_S4_S6_S6_S8_S6_PiPS3_21rocsparse_index_base_SB_SB_b, .Lfunc_end11-_ZN9rocsparseL39bsrgeam_wf_per_row_multipass_2_3_kernelILj256ELj3ELj64EdEEv20rocsparse_direction_iiiNS_24const_host_device_scalarIT2_EEPKiS6_PKS3_S4_S6_S6_S8_S6_PiPS3_21rocsparse_index_base_SB_SB_b
                                        ; -- End function
	.set _ZN9rocsparseL39bsrgeam_wf_per_row_multipass_2_3_kernelILj256ELj3ELj64EdEEv20rocsparse_direction_iiiNS_24const_host_device_scalarIT2_EEPKiS6_PKS3_S4_S6_S6_S8_S6_PiPS3_21rocsparse_index_base_SB_SB_b.num_vgpr, 82
	.set _ZN9rocsparseL39bsrgeam_wf_per_row_multipass_2_3_kernelILj256ELj3ELj64EdEEv20rocsparse_direction_iiiNS_24const_host_device_scalarIT2_EEPKiS6_PKS3_S4_S6_S6_S8_S6_PiPS3_21rocsparse_index_base_SB_SB_b.num_agpr, 0
	.set _ZN9rocsparseL39bsrgeam_wf_per_row_multipass_2_3_kernelILj256ELj3ELj64EdEEv20rocsparse_direction_iiiNS_24const_host_device_scalarIT2_EEPKiS6_PKS3_S4_S6_S6_S8_S6_PiPS3_21rocsparse_index_base_SB_SB_b.numbered_sgpr, 37
	.set _ZN9rocsparseL39bsrgeam_wf_per_row_multipass_2_3_kernelILj256ELj3ELj64EdEEv20rocsparse_direction_iiiNS_24const_host_device_scalarIT2_EEPKiS6_PKS3_S4_S6_S6_S8_S6_PiPS3_21rocsparse_index_base_SB_SB_b.num_named_barrier, 0
	.set _ZN9rocsparseL39bsrgeam_wf_per_row_multipass_2_3_kernelILj256ELj3ELj64EdEEv20rocsparse_direction_iiiNS_24const_host_device_scalarIT2_EEPKiS6_PKS3_S4_S6_S6_S8_S6_PiPS3_21rocsparse_index_base_SB_SB_b.private_seg_size, 0
	.set _ZN9rocsparseL39bsrgeam_wf_per_row_multipass_2_3_kernelILj256ELj3ELj64EdEEv20rocsparse_direction_iiiNS_24const_host_device_scalarIT2_EEPKiS6_PKS3_S4_S6_S6_S8_S6_PiPS3_21rocsparse_index_base_SB_SB_b.uses_vcc, 1
	.set _ZN9rocsparseL39bsrgeam_wf_per_row_multipass_2_3_kernelILj256ELj3ELj64EdEEv20rocsparse_direction_iiiNS_24const_host_device_scalarIT2_EEPKiS6_PKS3_S4_S6_S6_S8_S6_PiPS3_21rocsparse_index_base_SB_SB_b.uses_flat_scratch, 0
	.set _ZN9rocsparseL39bsrgeam_wf_per_row_multipass_2_3_kernelILj256ELj3ELj64EdEEv20rocsparse_direction_iiiNS_24const_host_device_scalarIT2_EEPKiS6_PKS3_S4_S6_S6_S8_S6_PiPS3_21rocsparse_index_base_SB_SB_b.has_dyn_sized_stack, 0
	.set _ZN9rocsparseL39bsrgeam_wf_per_row_multipass_2_3_kernelILj256ELj3ELj64EdEEv20rocsparse_direction_iiiNS_24const_host_device_scalarIT2_EEPKiS6_PKS3_S4_S6_S6_S8_S6_PiPS3_21rocsparse_index_base_SB_SB_b.has_recursion, 0
	.set _ZN9rocsparseL39bsrgeam_wf_per_row_multipass_2_3_kernelILj256ELj3ELj64EdEEv20rocsparse_direction_iiiNS_24const_host_device_scalarIT2_EEPKiS6_PKS3_S4_S6_S6_S8_S6_PiPS3_21rocsparse_index_base_SB_SB_b.has_indirect_call, 0
	.section	.AMDGPU.csdata,"",@progbits
; Kernel info:
; codeLenInByte = 2928
; TotalNumSgprs: 43
; NumVgprs: 82
; NumAgprs: 0
; TotalNumVgprs: 82
; ScratchSize: 0
; MemoryBound: 0
; FloatMode: 240
; IeeeMode: 1
; LDSByteSize: 18688 bytes/workgroup (compile time only)
; SGPRBlocks: 5
; VGPRBlocks: 10
; NumSGPRsForWavesPerEU: 43
; NumVGPRsForWavesPerEU: 82
; AccumOffset: 84
; Occupancy: 5
; WaveLimiterHint : 1
; COMPUTE_PGM_RSRC2:SCRATCH_EN: 0
; COMPUTE_PGM_RSRC2:USER_SGPR: 2
; COMPUTE_PGM_RSRC2:TRAP_HANDLER: 0
; COMPUTE_PGM_RSRC2:TGID_X_EN: 1
; COMPUTE_PGM_RSRC2:TGID_Y_EN: 0
; COMPUTE_PGM_RSRC2:TGID_Z_EN: 0
; COMPUTE_PGM_RSRC2:TIDIG_COMP_CNT: 0
; COMPUTE_PGM_RSRC3_GFX90A:ACCUM_OFFSET: 20
; COMPUTE_PGM_RSRC3_GFX90A:TG_SPLIT: 0
	.section	.text._ZN9rocsparseL35bsrgeam_wf_per_row_multipass_kernelILj64ELj4EdEEv20rocsparse_direction_iiiNS_24const_host_device_scalarIT1_EEPKiS6_PKS3_S4_S6_S6_S8_S6_PiPS3_21rocsparse_index_base_SB_SB_b,"axG",@progbits,_ZN9rocsparseL35bsrgeam_wf_per_row_multipass_kernelILj64ELj4EdEEv20rocsparse_direction_iiiNS_24const_host_device_scalarIT1_EEPKiS6_PKS3_S4_S6_S6_S8_S6_PiPS3_21rocsparse_index_base_SB_SB_b,comdat
	.globl	_ZN9rocsparseL35bsrgeam_wf_per_row_multipass_kernelILj64ELj4EdEEv20rocsparse_direction_iiiNS_24const_host_device_scalarIT1_EEPKiS6_PKS3_S4_S6_S6_S8_S6_PiPS3_21rocsparse_index_base_SB_SB_b ; -- Begin function _ZN9rocsparseL35bsrgeam_wf_per_row_multipass_kernelILj64ELj4EdEEv20rocsparse_direction_iiiNS_24const_host_device_scalarIT1_EEPKiS6_PKS3_S4_S6_S6_S8_S6_PiPS3_21rocsparse_index_base_SB_SB_b
	.p2align	8
	.type	_ZN9rocsparseL35bsrgeam_wf_per_row_multipass_kernelILj64ELj4EdEEv20rocsparse_direction_iiiNS_24const_host_device_scalarIT1_EEPKiS6_PKS3_S4_S6_S6_S8_S6_PiPS3_21rocsparse_index_base_SB_SB_b,@function
_ZN9rocsparseL35bsrgeam_wf_per_row_multipass_kernelILj64ELj4EdEEv20rocsparse_direction_iiiNS_24const_host_device_scalarIT1_EEPKiS6_PKS3_S4_S6_S6_S8_S6_PiPS3_21rocsparse_index_base_SB_SB_b: ; @_ZN9rocsparseL35bsrgeam_wf_per_row_multipass_kernelILj64ELj4EdEEv20rocsparse_direction_iiiNS_24const_host_device_scalarIT1_EEPKiS6_PKS3_S4_S6_S6_S8_S6_PiPS3_21rocsparse_index_base_SB_SB_b
; %bb.0:
	s_load_dwordx4 s[8:11], s[0:1], 0x68
	s_load_dwordx2 s[4:5], s[0:1], 0x10
	s_load_dwordx2 s[6:7], s[0:1], 0x30
	s_waitcnt lgkmcnt(0)
	s_bitcmp1_b32 s11, 0
	s_cselect_b64 s[14:15], -1, 0
	s_xor_b64 s[12:13], s[14:15], -1
	s_and_b64 vcc, exec, s[14:15]
	v_mov_b64_e32 v[2:3], s[4:5]
	s_cbranch_vccnz .LBB12_2
; %bb.1:
	v_mov_b64_e32 v[2:3], s[4:5]
	flat_load_dwordx2 v[2:3], v[2:3]
.LBB12_2:
	s_load_dwordx2 s[4:5], s[0:1], 0x18
	s_andn2_b64 vcc, exec, s[12:13]
	v_mov_b64_e32 v[4:5], s[6:7]
	s_cbranch_vccnz .LBB12_4
; %bb.3:
	v_mov_b64_e32 v[4:5], s[6:7]
	flat_load_dwordx2 v[4:5], v[4:5]
.LBB12_4:
	s_load_dwordx4 s[12:15], s[0:1], 0x0
	v_lshrrev_b32_e32 v18, 4, v0
	v_lshl_or_b32 v12, s2, 2, v18
	v_mov_b32_e32 v1, 0
	v_ashrrev_i32_e32 v13, 31, v12
	s_waitcnt lgkmcnt(0)
	v_cmp_le_i32_e32 vcc, s13, v12
	v_cmp_gt_i32_e64 s[2:3], s13, v12
	v_mov_b32_e32 v6, 0
	s_and_saveexec_b64 s[6:7], s[2:3]
	s_cbranch_execz .LBB12_6
; %bb.5:
	v_lshl_add_u64 v[6:7], v[12:13], 2, s[4:5]
	global_load_dword v6, v[6:7], off
	s_waitcnt vmcnt(0)
	v_subrev_u32_e32 v6, s8, v6
.LBB12_6:
	s_or_b64 exec, exec, s[6:7]
	s_load_dwordx2 s[6:7], s[0:1], 0x38
	s_and_saveexec_b64 s[16:17], s[2:3]
	s_cbranch_execz .LBB12_8
; %bb.7:
	v_lshl_add_u64 v[8:9], v[12:13], 2, s[4:5]
	global_load_dword v1, v[8:9], off offset:4
	s_waitcnt vmcnt(0)
	v_subrev_u32_e32 v1, s8, v1
.LBB12_8:
	s_or_b64 exec, exec, s[16:17]
	v_mov_b32_e32 v15, 0
	v_mov_b32_e32 v8, 0
	s_and_saveexec_b64 s[4:5], s[2:3]
	s_cbranch_execz .LBB12_10
; %bb.9:
	s_waitcnt lgkmcnt(0)
	v_lshl_add_u64 v[8:9], v[12:13], 2, s[6:7]
	global_load_dword v7, v[8:9], off
	s_waitcnt vmcnt(0)
	v_subrev_u32_e32 v8, s9, v7
.LBB12_10:
	s_or_b64 exec, exec, s[4:5]
	s_and_saveexec_b64 s[4:5], s[2:3]
	s_cbranch_execz .LBB12_12
; %bb.11:
	s_waitcnt lgkmcnt(0)
	v_lshl_add_u64 v[10:11], v[12:13], 2, s[6:7]
	global_load_dword v7, v[10:11], off offset:4
	s_waitcnt vmcnt(0)
	v_subrev_u32_e32 v15, s9, v7
.LBB12_12:
	s_or_b64 exec, exec, s[4:5]
	s_load_dwordx2 s[20:21], s[0:1], 0x20
	v_mov_b32_e32 v10, 0
	s_and_saveexec_b64 s[4:5], s[2:3]
	s_cbranch_execz .LBB12_14
; %bb.13:
	s_load_dwordx2 s[2:3], s[0:1], 0x50
	s_waitcnt lgkmcnt(0)
	v_lshl_add_u64 v[10:11], v[12:13], 2, s[2:3]
	global_load_dword v7, v[10:11], off
	s_waitcnt vmcnt(0)
	v_subrev_u32_e32 v10, s10, v7
.LBB12_14:
	s_or_b64 exec, exec, s[4:5]
	s_load_dwordx2 s[22:23], s[0:1], 0x40
	v_cmp_lt_i32_e64 s[2:3], v6, v1
	v_mov_b32_e32 v7, s14
	s_and_saveexec_b64 s[4:5], s[2:3]
	s_cbranch_execz .LBB12_16
; %bb.15:
	v_ashrrev_i32_e32 v7, 31, v6
	s_waitcnt lgkmcnt(0)
	v_lshl_add_u64 v[12:13], v[6:7], 2, s[20:21]
	global_load_dword v7, v[12:13], off
	s_waitcnt vmcnt(0)
	v_subrev_u32_e32 v7, s8, v7
.LBB12_16:
	s_or_b64 exec, exec, s[4:5]
	v_cmp_lt_i32_e64 s[2:3], v8, v15
	v_mov_b32_e32 v9, s14
	s_and_saveexec_b64 s[4:5], s[2:3]
	s_cbranch_execz .LBB12_18
; %bb.17:
	v_ashrrev_i32_e32 v9, 31, v8
	s_waitcnt lgkmcnt(0)
	v_lshl_add_u64 v[12:13], v[8:9], 2, s[22:23]
	global_load_dword v9, v[12:13], off
	s_waitcnt vmcnt(0)
	v_subrev_u32_e32 v9, s9, v9
.LBB12_18:
	s_or_b64 exec, exec, s[4:5]
	v_cndmask_b32_e64 v12, 0, 1, vcc
	v_lshlrev_b32_e32 v11, 2, v18
	ds_write_b32 v11, v12 offset:512
	v_mov_b32_e32 v12, 0
	s_waitcnt lgkmcnt(0)
	; wave barrier
	ds_read_b32 v13, v12 offset:512
	s_waitcnt lgkmcnt(0)
	v_cmp_lt_u32_e32 vcc, 3, v13
	s_cbranch_vccnz .LBB12_58
; %bb.19:
	v_or_b32_e32 v17, 0x200, v11
	v_and_b32_e32 v14, 3, v0
	v_bfe_u32 v16, v0, 2, 2
	v_min_i32_e32 v11, v9, v7
	v_mov_b32_e32 v7, 0x210
	s_load_dwordx4 s[16:19], s[0:1], 0x58
	s_load_dwordx2 s[24:25], s[0:1], 0x28
	s_load_dwordx2 s[26:27], s[0:1], 0x48
	v_lshl_or_b32 v19, v18, 2, v7
	v_max_i32_e32 v7, v16, v14
	v_cmp_gt_i32_e64 s[0:1], s15, v7
	v_and_b32_e32 v7, 48, v0
	s_cmp_lg_u32 s12, 0
	v_lshlrev_b32_e32 v7, 3, v7
	v_lshlrev_b32_e32 v9, 5, v16
	v_lshlrev_b32_e32 v13, 3, v14
	s_cselect_b64 s[28:29], -1, 0
	s_cmp_eq_u32 s12, 0
	v_or3_b32 v27, v7, v9, v13
	v_lshlrev_b32_e32 v9, 5, v14
	v_lshlrev_b32_e32 v13, 3, v16
	v_or3_b32 v28, v7, v9, v13
	v_mov_b32_e32 v7, 0x200
	s_cselect_b64 vcc, -1, 0
	v_lshlrev_b32_e32 v26, 3, v0
	v_cmp_gt_u32_e64 s[2:3], 2, v0
	v_lshl_or_b32 v29, v0, 2, v7
	v_cmp_eq_u32_e64 s[4:5], 0, v0
	v_cndmask_b32_e32 v0, v16, v14, vcc
	v_cndmask_b32_e32 v18, v14, v16, vcc
	;; [unrolled: 1-line block ×3, first 2 shown]
	s_mul_i32 s11, s15, s15
	v_mov_b32_e32 v13, v12
	v_mov_b32_e32 v31, 1
	s_branch .LBB12_21
.LBB12_20:                              ;   in Loop: Header=BB12_21 Depth=1
	s_or_b64 exec, exec, s[6:7]
	s_waitcnt lgkmcnt(0)
	; wave barrier
	ds_read_b32 v9, v12 offset:512
	v_add_u32_e32 v10, 1, v10
	v_mov_b32_e32 v11, v7
	s_waitcnt lgkmcnt(0)
	v_cmp_gt_u32_e32 vcc, 4, v9
	s_cbranch_vccz .LBB12_58
.LBB12_21:                              ; =>This Loop Header: Depth=1
                                        ;     Child Loop BB12_24 Depth 2
                                        ;     Child Loop BB12_39 Depth 2
	v_cmp_lt_i32_e32 vcc, v6, v1
	v_mov_b32_e32 v7, s14
	ds_write_b32 v19, v12
	ds_write_b64 v26, v[12:13]
	s_waitcnt lgkmcnt(0)
	; wave barrier
	s_and_saveexec_b64 s[12:13], vcc
	s_cbranch_execz .LBB12_36
; %bb.22:                               ;   in Loop: Header=BB12_21 Depth=1
	v_mul_lo_u32 v7, s15, v6
	v_add_u32_e32 v9, v14, v7
	v_add_u32_e32 v7, v16, v7
	v_mad_u64_u32 v[22:23], s[6:7], s15, v7, v[14:15]
	v_ashrrev_i32_e32 v7, 31, v6
	v_mad_u64_u32 v[20:21], s[6:7], s15, v9, v[16:17]
	v_lshl_add_u64 v[24:25], v[6:7], 2, s[20:21]
	s_mov_b64 s[30:31], 0
	v_mov_b32_e32 v9, 0
	v_mov_b32_e32 v7, s14
	s_branch .LBB12_24
.LBB12_23:                              ;   in Loop: Header=BB12_24 Depth=2
	s_or_b64 exec, exec, s[36:37]
	s_and_b64 s[6:7], exec, s[34:35]
	v_mov_b32_e32 v23, v6
	s_or_b64 s[30:31], s[6:7], s[30:31]
	v_mov_b32_e32 v6, v21
	s_andn2_b64 exec, exec, s[30:31]
	s_cbranch_execz .LBB12_35
.LBB12_24:                              ;   Parent Loop BB12_21 Depth=1
                                        ; =>  This Inner Loop Header: Depth=2
	global_load_dword v21, v[24:25], off
	s_waitcnt vmcnt(0)
	v_subrev_u32_e32 v21, s8, v21
	v_cmp_le_i32_e64 s[6:7], v21, v11
	s_and_saveexec_b64 s[34:35], s[6:7]
	s_xor_b64 s[34:35], exec, s[34:35]
	s_cbranch_execz .LBB12_31
; %bb.25:                               ;   in Loop: Header=BB12_24 Depth=2
	ds_write_b32 v19, v31
	s_and_saveexec_b64 s[36:37], s[0:1]
	s_cbranch_execz .LBB12_30
; %bb.26:                               ;   in Loop: Header=BB12_24 Depth=2
	s_mov_b64 s[38:39], -1
	s_and_b64 vcc, exec, s[28:29]
	s_cbranch_vccz .LBB12_28
; %bb.27:                               ;   in Loop: Header=BB12_24 Depth=2
	v_add_u32_e32 v32, v22, v9
	v_ashrrev_i32_e32 v33, 31, v32
	v_lshl_add_u64 v[32:33], v[32:33], 3, s[24:25]
	global_load_dwordx2 v[32:33], v[32:33], off
	s_mov_b64 s[38:39], 0
	s_waitcnt vmcnt(0)
	v_mul_f64 v[32:33], v[2:3], v[32:33]
	ds_write_b64 v27, v[32:33]
.LBB12_28:                              ;   in Loop: Header=BB12_24 Depth=2
	s_andn2_b64 vcc, exec, s[38:39]
	s_cbranch_vccnz .LBB12_30
; %bb.29:                               ;   in Loop: Header=BB12_24 Depth=2
	v_add_u32_e32 v32, v20, v9
	v_ashrrev_i32_e32 v33, 31, v32
	v_lshl_add_u64 v[32:33], v[32:33], 3, s[24:25]
	global_load_dwordx2 v[32:33], v[32:33], off
	s_waitcnt vmcnt(0)
	v_mul_f64 v[32:33], v[2:3], v[32:33]
	ds_write_b64 v28, v[32:33]
.LBB12_30:                              ;   in Loop: Header=BB12_24 Depth=2
	s_or_b64 exec, exec, s[36:37]
                                        ; implicit-def: $vgpr21
	s_andn2_saveexec_b64 s[34:35], s[34:35]
	s_branch .LBB12_32
.LBB12_31:                              ;   in Loop: Header=BB12_24 Depth=2
	s_andn2_saveexec_b64 s[34:35], s[34:35]
.LBB12_32:                              ;   in Loop: Header=BB12_24 Depth=2
	v_min_i32_e32 v7, v21, v7
; %bb.33:                               ;   in Loop: Header=BB12_24 Depth=2
	s_or_b64 exec, exec, s[34:35]
	s_mov_b64 s[34:35], -1
                                        ; implicit-def: $vgpr21
	s_and_saveexec_b64 s[36:37], s[6:7]
	s_cbranch_execz .LBB12_23
; %bb.34:                               ;   in Loop: Header=BB12_24 Depth=2
	v_add_u32_e32 v21, 1, v6
	v_cmp_ge_i32_e32 vcc, v21, v1
	v_add_u32_e32 v9, s11, v9
	v_lshl_add_u64 v[24:25], v[24:25], 0, 4
	s_orn2_b64 s[34:35], vcc, exec
	v_mov_b32_e32 v6, v1
	s_branch .LBB12_23
.LBB12_35:                              ;   in Loop: Header=BB12_21 Depth=1
	s_or_b64 exec, exec, s[30:31]
	v_mov_b32_e32 v6, v23
.LBB12_36:                              ;   in Loop: Header=BB12_21 Depth=1
	s_or_b64 exec, exec, s[12:13]
	v_cmp_lt_i32_e32 vcc, v8, v15
	s_waitcnt lgkmcnt(0)
	; wave barrier
	s_and_saveexec_b64 s[12:13], vcc
	s_cbranch_execz .LBB12_51
; %bb.37:                               ;   in Loop: Header=BB12_21 Depth=1
	v_mul_lo_u32 v9, s15, v8
	v_add_u32_e32 v20, v14, v9
	v_add_u32_e32 v9, v16, v9
	v_mad_u64_u32 v[22:23], s[6:7], s15, v9, v[14:15]
	v_ashrrev_i32_e32 v9, 31, v8
	v_mad_u64_u32 v[20:21], s[6:7], s15, v20, v[16:17]
	v_lshl_add_u64 v[24:25], v[8:9], 2, s[22:23]
	s_mov_b64 s[30:31], 0
	v_mov_b32_e32 v9, 0
	s_branch .LBB12_39
.LBB12_38:                              ;   in Loop: Header=BB12_39 Depth=2
	s_or_b64 exec, exec, s[36:37]
	s_and_b64 s[6:7], exec, s[34:35]
	v_mov_b32_e32 v23, v8
	s_or_b64 s[30:31], s[6:7], s[30:31]
	v_mov_b32_e32 v8, v21
	s_andn2_b64 exec, exec, s[30:31]
	s_cbranch_execz .LBB12_50
.LBB12_39:                              ;   Parent Loop BB12_21 Depth=1
                                        ; =>  This Inner Loop Header: Depth=2
	global_load_dword v21, v[24:25], off
	s_waitcnt vmcnt(0)
	v_subrev_u32_e32 v21, s9, v21
	v_cmp_le_i32_e64 s[6:7], v21, v11
	s_and_saveexec_b64 s[34:35], s[6:7]
	s_xor_b64 s[34:35], exec, s[34:35]
	s_cbranch_execz .LBB12_46
; %bb.40:                               ;   in Loop: Header=BB12_39 Depth=2
	ds_write_b32 v19, v31
	s_and_saveexec_b64 s[36:37], s[0:1]
	s_cbranch_execz .LBB12_45
; %bb.41:                               ;   in Loop: Header=BB12_39 Depth=2
	s_mov_b64 s[38:39], -1
	s_and_b64 vcc, exec, s[28:29]
	s_cbranch_vccz .LBB12_43
; %bb.42:                               ;   in Loop: Header=BB12_39 Depth=2
	v_add_u32_e32 v32, v22, v9
	v_ashrrev_i32_e32 v33, 31, v32
	v_lshl_add_u64 v[32:33], v[32:33], 3, s[26:27]
	global_load_dwordx2 v[32:33], v[32:33], off
	ds_read_b64 v[34:35], v27
	s_mov_b64 s[38:39], 0
	s_waitcnt vmcnt(0) lgkmcnt(0)
	v_fmac_f64_e32 v[34:35], v[4:5], v[32:33]
	ds_write_b64 v27, v[34:35]
.LBB12_43:                              ;   in Loop: Header=BB12_39 Depth=2
	s_andn2_b64 vcc, exec, s[38:39]
	s_cbranch_vccnz .LBB12_45
; %bb.44:                               ;   in Loop: Header=BB12_39 Depth=2
	v_add_u32_e32 v32, v20, v9
	v_ashrrev_i32_e32 v33, 31, v32
	v_lshl_add_u64 v[32:33], v[32:33], 3, s[26:27]
	global_load_dwordx2 v[32:33], v[32:33], off
	ds_read_b64 v[34:35], v28
	s_waitcnt vmcnt(0) lgkmcnt(0)
	v_fmac_f64_e32 v[34:35], v[4:5], v[32:33]
	ds_write_b64 v28, v[34:35]
.LBB12_45:                              ;   in Loop: Header=BB12_39 Depth=2
	s_or_b64 exec, exec, s[36:37]
                                        ; implicit-def: $vgpr21
	s_andn2_saveexec_b64 s[34:35], s[34:35]
	s_branch .LBB12_47
.LBB12_46:                              ;   in Loop: Header=BB12_39 Depth=2
	s_andn2_saveexec_b64 s[34:35], s[34:35]
.LBB12_47:                              ;   in Loop: Header=BB12_39 Depth=2
	v_min_i32_e32 v7, v21, v7
; %bb.48:                               ;   in Loop: Header=BB12_39 Depth=2
	s_or_b64 exec, exec, s[34:35]
	s_mov_b64 s[34:35], -1
                                        ; implicit-def: $vgpr21
	s_and_saveexec_b64 s[36:37], s[6:7]
	s_cbranch_execz .LBB12_38
; %bb.49:                               ;   in Loop: Header=BB12_39 Depth=2
	v_add_u32_e32 v21, 1, v8
	v_cmp_ge_i32_e32 vcc, v21, v15
	v_add_u32_e32 v9, s11, v9
	v_lshl_add_u64 v[24:25], v[24:25], 0, 4
	s_orn2_b64 s[34:35], vcc, exec
	v_mov_b32_e32 v8, v15
	s_branch .LBB12_38
.LBB12_50:                              ;   in Loop: Header=BB12_21 Depth=1
	s_or_b64 exec, exec, s[30:31]
	v_mov_b32_e32 v8, v23
.LBB12_51:                              ;   in Loop: Header=BB12_21 Depth=1
	s_or_b64 exec, exec, s[12:13]
	s_waitcnt lgkmcnt(0)
	; wave barrier
	ds_read_b32 v9, v19
	s_waitcnt lgkmcnt(0)
	v_cmp_ne_u32_e32 vcc, 0, v9
	s_and_saveexec_b64 s[6:7], vcc
	s_cbranch_execz .LBB12_54
; %bb.52:                               ;   in Loop: Header=BB12_21 Depth=1
	v_add_u32_e32 v9, s10, v11
	v_ashrrev_i32_e32 v11, 31, v10
	v_lshl_add_u64 v[20:21], v[10:11], 2, s[16:17]
	global_store_dword v[20:21], v9, off
	s_and_b64 exec, exec, s[0:1]
	s_cbranch_execz .LBB12_54
; %bb.53:                               ;   in Loop: Header=BB12_21 Depth=1
	ds_read_b64 v[20:21], v30
	v_mad_u64_u32 v[22:23], s[12:13], v10, s15, v[0:1]
	v_mad_u64_u32 v[22:23], s[12:13], v22, s15, v[18:19]
	v_ashrrev_i32_e32 v23, 31, v22
	v_lshl_add_u64 v[22:23], v[22:23], 3, s[18:19]
	s_waitcnt lgkmcnt(0)
	global_store_dwordx2 v[22:23], v[20:21], off
.LBB12_54:                              ;   in Loop: Header=BB12_21 Depth=1
	s_or_b64 exec, exec, s[6:7]
	v_cmp_le_i32_e32 vcc, s14, v7
	; wave barrier
	s_nop 1
	v_cndmask_b32_e64 v9, 0, 1, vcc
	; wave barrier
	ds_write_b32 v17, v9
	s_waitcnt lgkmcnt(0)
	; wave barrier
	s_and_saveexec_b64 s[6:7], s[2:3]
	s_cbranch_execz .LBB12_56
; %bb.55:                               ;   in Loop: Header=BB12_21 Depth=1
	ds_read2_b32 v[20:21], v29 offset1:2
	s_waitcnt lgkmcnt(0)
	v_add_u32_e32 v9, v21, v20
	ds_write_b32 v29, v9
.LBB12_56:                              ;   in Loop: Header=BB12_21 Depth=1
	s_or_b64 exec, exec, s[6:7]
	s_waitcnt lgkmcnt(0)
	; wave barrier
	s_and_saveexec_b64 s[6:7], s[4:5]
	s_cbranch_execz .LBB12_20
; %bb.57:                               ;   in Loop: Header=BB12_21 Depth=1
	ds_read_b64 v[20:21], v12 offset:512
	s_waitcnt lgkmcnt(0)
	v_add_u32_e32 v9, v21, v20
	ds_write_b32 v12, v9 offset:512
	s_branch .LBB12_20
.LBB12_58:
	s_endpgm
	.section	.rodata,"a",@progbits
	.p2align	6, 0x0
	.amdhsa_kernel _ZN9rocsparseL35bsrgeam_wf_per_row_multipass_kernelILj64ELj4EdEEv20rocsparse_direction_iiiNS_24const_host_device_scalarIT1_EEPKiS6_PKS3_S4_S6_S6_S8_S6_PiPS3_21rocsparse_index_base_SB_SB_b
		.amdhsa_group_segment_fixed_size 544
		.amdhsa_private_segment_fixed_size 0
		.amdhsa_kernarg_size 120
		.amdhsa_user_sgpr_count 2
		.amdhsa_user_sgpr_dispatch_ptr 0
		.amdhsa_user_sgpr_queue_ptr 0
		.amdhsa_user_sgpr_kernarg_segment_ptr 1
		.amdhsa_user_sgpr_dispatch_id 0
		.amdhsa_user_sgpr_kernarg_preload_length 0
		.amdhsa_user_sgpr_kernarg_preload_offset 0
		.amdhsa_user_sgpr_private_segment_size 0
		.amdhsa_uses_dynamic_stack 0
		.amdhsa_enable_private_segment 0
		.amdhsa_system_sgpr_workgroup_id_x 1
		.amdhsa_system_sgpr_workgroup_id_y 0
		.amdhsa_system_sgpr_workgroup_id_z 0
		.amdhsa_system_sgpr_workgroup_info 0
		.amdhsa_system_vgpr_workitem_id 0
		.amdhsa_next_free_vgpr 36
		.amdhsa_next_free_sgpr 40
		.amdhsa_accum_offset 36
		.amdhsa_reserve_vcc 1
		.amdhsa_float_round_mode_32 0
		.amdhsa_float_round_mode_16_64 0
		.amdhsa_float_denorm_mode_32 3
		.amdhsa_float_denorm_mode_16_64 3
		.amdhsa_dx10_clamp 1
		.amdhsa_ieee_mode 1
		.amdhsa_fp16_overflow 0
		.amdhsa_tg_split 0
		.amdhsa_exception_fp_ieee_invalid_op 0
		.amdhsa_exception_fp_denorm_src 0
		.amdhsa_exception_fp_ieee_div_zero 0
		.amdhsa_exception_fp_ieee_overflow 0
		.amdhsa_exception_fp_ieee_underflow 0
		.amdhsa_exception_fp_ieee_inexact 0
		.amdhsa_exception_int_div_zero 0
	.end_amdhsa_kernel
	.section	.text._ZN9rocsparseL35bsrgeam_wf_per_row_multipass_kernelILj64ELj4EdEEv20rocsparse_direction_iiiNS_24const_host_device_scalarIT1_EEPKiS6_PKS3_S4_S6_S6_S8_S6_PiPS3_21rocsparse_index_base_SB_SB_b,"axG",@progbits,_ZN9rocsparseL35bsrgeam_wf_per_row_multipass_kernelILj64ELj4EdEEv20rocsparse_direction_iiiNS_24const_host_device_scalarIT1_EEPKiS6_PKS3_S4_S6_S6_S8_S6_PiPS3_21rocsparse_index_base_SB_SB_b,comdat
.Lfunc_end12:
	.size	_ZN9rocsparseL35bsrgeam_wf_per_row_multipass_kernelILj64ELj4EdEEv20rocsparse_direction_iiiNS_24const_host_device_scalarIT1_EEPKiS6_PKS3_S4_S6_S6_S8_S6_PiPS3_21rocsparse_index_base_SB_SB_b, .Lfunc_end12-_ZN9rocsparseL35bsrgeam_wf_per_row_multipass_kernelILj64ELj4EdEEv20rocsparse_direction_iiiNS_24const_host_device_scalarIT1_EEPKiS6_PKS3_S4_S6_S6_S8_S6_PiPS3_21rocsparse_index_base_SB_SB_b
                                        ; -- End function
	.set _ZN9rocsparseL35bsrgeam_wf_per_row_multipass_kernelILj64ELj4EdEEv20rocsparse_direction_iiiNS_24const_host_device_scalarIT1_EEPKiS6_PKS3_S4_S6_S6_S8_S6_PiPS3_21rocsparse_index_base_SB_SB_b.num_vgpr, 36
	.set _ZN9rocsparseL35bsrgeam_wf_per_row_multipass_kernelILj64ELj4EdEEv20rocsparse_direction_iiiNS_24const_host_device_scalarIT1_EEPKiS6_PKS3_S4_S6_S6_S8_S6_PiPS3_21rocsparse_index_base_SB_SB_b.num_agpr, 0
	.set _ZN9rocsparseL35bsrgeam_wf_per_row_multipass_kernelILj64ELj4EdEEv20rocsparse_direction_iiiNS_24const_host_device_scalarIT1_EEPKiS6_PKS3_S4_S6_S6_S8_S6_PiPS3_21rocsparse_index_base_SB_SB_b.numbered_sgpr, 40
	.set _ZN9rocsparseL35bsrgeam_wf_per_row_multipass_kernelILj64ELj4EdEEv20rocsparse_direction_iiiNS_24const_host_device_scalarIT1_EEPKiS6_PKS3_S4_S6_S6_S8_S6_PiPS3_21rocsparse_index_base_SB_SB_b.num_named_barrier, 0
	.set _ZN9rocsparseL35bsrgeam_wf_per_row_multipass_kernelILj64ELj4EdEEv20rocsparse_direction_iiiNS_24const_host_device_scalarIT1_EEPKiS6_PKS3_S4_S6_S6_S8_S6_PiPS3_21rocsparse_index_base_SB_SB_b.private_seg_size, 0
	.set _ZN9rocsparseL35bsrgeam_wf_per_row_multipass_kernelILj64ELj4EdEEv20rocsparse_direction_iiiNS_24const_host_device_scalarIT1_EEPKiS6_PKS3_S4_S6_S6_S8_S6_PiPS3_21rocsparse_index_base_SB_SB_b.uses_vcc, 1
	.set _ZN9rocsparseL35bsrgeam_wf_per_row_multipass_kernelILj64ELj4EdEEv20rocsparse_direction_iiiNS_24const_host_device_scalarIT1_EEPKiS6_PKS3_S4_S6_S6_S8_S6_PiPS3_21rocsparse_index_base_SB_SB_b.uses_flat_scratch, 0
	.set _ZN9rocsparseL35bsrgeam_wf_per_row_multipass_kernelILj64ELj4EdEEv20rocsparse_direction_iiiNS_24const_host_device_scalarIT1_EEPKiS6_PKS3_S4_S6_S6_S8_S6_PiPS3_21rocsparse_index_base_SB_SB_b.has_dyn_sized_stack, 0
	.set _ZN9rocsparseL35bsrgeam_wf_per_row_multipass_kernelILj64ELj4EdEEv20rocsparse_direction_iiiNS_24const_host_device_scalarIT1_EEPKiS6_PKS3_S4_S6_S6_S8_S6_PiPS3_21rocsparse_index_base_SB_SB_b.has_recursion, 0
	.set _ZN9rocsparseL35bsrgeam_wf_per_row_multipass_kernelILj64ELj4EdEEv20rocsparse_direction_iiiNS_24const_host_device_scalarIT1_EEPKiS6_PKS3_S4_S6_S6_S8_S6_PiPS3_21rocsparse_index_base_SB_SB_b.has_indirect_call, 0
	.section	.AMDGPU.csdata,"",@progbits
; Kernel info:
; codeLenInByte = 1712
; TotalNumSgprs: 46
; NumVgprs: 36
; NumAgprs: 0
; TotalNumVgprs: 36
; ScratchSize: 0
; MemoryBound: 0
; FloatMode: 240
; IeeeMode: 1
; LDSByteSize: 544 bytes/workgroup (compile time only)
; SGPRBlocks: 5
; VGPRBlocks: 4
; NumSGPRsForWavesPerEU: 46
; NumVGPRsForWavesPerEU: 36
; AccumOffset: 36
; Occupancy: 8
; WaveLimiterHint : 1
; COMPUTE_PGM_RSRC2:SCRATCH_EN: 0
; COMPUTE_PGM_RSRC2:USER_SGPR: 2
; COMPUTE_PGM_RSRC2:TRAP_HANDLER: 0
; COMPUTE_PGM_RSRC2:TGID_X_EN: 1
; COMPUTE_PGM_RSRC2:TGID_Y_EN: 0
; COMPUTE_PGM_RSRC2:TGID_Z_EN: 0
; COMPUTE_PGM_RSRC2:TIDIG_COMP_CNT: 0
; COMPUTE_PGM_RSRC3_GFX90A:ACCUM_OFFSET: 8
; COMPUTE_PGM_RSRC3_GFX90A:TG_SPLIT: 0
	.section	.text._ZN9rocsparseL35bsrgeam_wf_per_row_multipass_kernelILj64ELj8EdEEv20rocsparse_direction_iiiNS_24const_host_device_scalarIT1_EEPKiS6_PKS3_S4_S6_S6_S8_S6_PiPS3_21rocsparse_index_base_SB_SB_b,"axG",@progbits,_ZN9rocsparseL35bsrgeam_wf_per_row_multipass_kernelILj64ELj8EdEEv20rocsparse_direction_iiiNS_24const_host_device_scalarIT1_EEPKiS6_PKS3_S4_S6_S6_S8_S6_PiPS3_21rocsparse_index_base_SB_SB_b,comdat
	.globl	_ZN9rocsparseL35bsrgeam_wf_per_row_multipass_kernelILj64ELj8EdEEv20rocsparse_direction_iiiNS_24const_host_device_scalarIT1_EEPKiS6_PKS3_S4_S6_S6_S8_S6_PiPS3_21rocsparse_index_base_SB_SB_b ; -- Begin function _ZN9rocsparseL35bsrgeam_wf_per_row_multipass_kernelILj64ELj8EdEEv20rocsparse_direction_iiiNS_24const_host_device_scalarIT1_EEPKiS6_PKS3_S4_S6_S6_S8_S6_PiPS3_21rocsparse_index_base_SB_SB_b
	.p2align	8
	.type	_ZN9rocsparseL35bsrgeam_wf_per_row_multipass_kernelILj64ELj8EdEEv20rocsparse_direction_iiiNS_24const_host_device_scalarIT1_EEPKiS6_PKS3_S4_S6_S6_S8_S6_PiPS3_21rocsparse_index_base_SB_SB_b,@function
_ZN9rocsparseL35bsrgeam_wf_per_row_multipass_kernelILj64ELj8EdEEv20rocsparse_direction_iiiNS_24const_host_device_scalarIT1_EEPKiS6_PKS3_S4_S6_S6_S8_S6_PiPS3_21rocsparse_index_base_SB_SB_b: ; @_ZN9rocsparseL35bsrgeam_wf_per_row_multipass_kernelILj64ELj8EdEEv20rocsparse_direction_iiiNS_24const_host_device_scalarIT1_EEPKiS6_PKS3_S4_S6_S6_S8_S6_PiPS3_21rocsparse_index_base_SB_SB_b
; %bb.0:
	s_load_dwordx4 s[4:7], s[0:1], 0x68
	s_load_dwordx2 s[12:13], s[0:1], 0x10
	s_load_dwordx2 s[8:9], s[0:1], 0x30
	s_waitcnt lgkmcnt(0)
	s_bitcmp1_b32 s7, 0
	s_cselect_b64 s[14:15], -1, 0
	s_xor_b64 s[10:11], s[14:15], -1
	s_and_b64 vcc, exec, s[14:15]
	v_mov_b64_e32 v[2:3], s[12:13]
	s_cbranch_vccnz .LBB13_2
; %bb.1:
	v_mov_b64_e32 v[2:3], s[12:13]
	flat_load_dwordx2 v[2:3], v[2:3]
.LBB13_2:
	s_load_dwordx2 s[16:17], s[0:1], 0x18
	s_andn2_b64 vcc, exec, s[10:11]
	v_mov_b64_e32 v[4:5], s[8:9]
	s_cbranch_vccnz .LBB13_4
; %bb.3:
	v_mov_b64_e32 v[4:5], s[8:9]
	flat_load_dwordx2 v[4:5], v[4:5]
.LBB13_4:
	s_load_dwordx4 s[8:11], s[0:1], 0x0
	v_mov_b32_e32 v1, 0
	v_mov_b32_e32 v12, s2
	;; [unrolled: 1-line block ×3, first 2 shown]
	s_waitcnt lgkmcnt(0)
	s_cmp_ge_i32 s2, s9
	s_cselect_b64 s[12:13], -1, 0
	s_cmp_lt_i32 s2, s9
	s_cselect_b64 s[14:15], -1, 0
	s_and_saveexec_b64 s[18:19], s[14:15]
	s_cbranch_execz .LBB13_6
; %bb.5:
	v_ashrrev_i32_e64 v13, 31, s2
	v_lshl_add_u64 v[6:7], v[12:13], 2, s[16:17]
	global_load_dword v6, v[6:7], off
	s_waitcnt vmcnt(0)
	v_subrev_u32_e32 v6, s4, v6
.LBB13_6:
	s_or_b64 exec, exec, s[18:19]
	s_load_dwordx2 s[18:19], s[0:1], 0x38
	s_and_saveexec_b64 s[20:21], s[14:15]
	s_cbranch_execz .LBB13_8
; %bb.7:
	v_ashrrev_i32_e64 v13, 31, s2
	v_lshl_add_u64 v[8:9], v[12:13], 2, s[16:17]
	global_load_dword v1, v[8:9], off offset:4
	s_waitcnt vmcnt(0)
	v_subrev_u32_e32 v1, s4, v1
.LBB13_8:
	s_or_b64 exec, exec, s[20:21]
	v_mov_b32_e32 v15, 0
	v_mov_b32_e32 v8, 0
	s_and_saveexec_b64 s[16:17], s[14:15]
	s_cbranch_execz .LBB13_10
; %bb.9:
	v_ashrrev_i32_e64 v13, 31, s2
	s_waitcnt lgkmcnt(0)
	v_lshl_add_u64 v[8:9], v[12:13], 2, s[18:19]
	global_load_dword v7, v[8:9], off
	s_waitcnt vmcnt(0)
	v_subrev_u32_e32 v8, s5, v7
.LBB13_10:
	s_or_b64 exec, exec, s[16:17]
	s_and_saveexec_b64 s[16:17], s[14:15]
	s_cbranch_execz .LBB13_12
; %bb.11:
	v_ashrrev_i32_e64 v13, 31, s2
	s_waitcnt lgkmcnt(0)
	v_lshl_add_u64 v[10:11], v[12:13], 2, s[18:19]
	global_load_dword v7, v[10:11], off offset:4
	s_waitcnt vmcnt(0)
	v_subrev_u32_e32 v15, s5, v7
.LBB13_12:
	s_or_b64 exec, exec, s[16:17]
	s_load_dwordx2 s[16:17], s[0:1], 0x20
	v_mov_b32_e32 v10, 0
	s_waitcnt lgkmcnt(0)
	s_and_saveexec_b64 s[18:19], s[14:15]
	s_cbranch_execz .LBB13_14
; %bb.13:
	s_load_dwordx2 s[14:15], s[0:1], 0x50
	v_ashrrev_i32_e64 v13, 31, s2
	s_waitcnt lgkmcnt(0)
	v_lshl_add_u64 v[10:11], v[12:13], 2, s[14:15]
	global_load_dword v7, v[10:11], off
	s_waitcnt vmcnt(0)
	v_subrev_u32_e32 v10, s6, v7
.LBB13_14:
	s_or_b64 exec, exec, s[18:19]
	s_load_dwordx2 s[18:19], s[0:1], 0x40
	v_cmp_lt_i32_e32 vcc, v6, v1
	v_mov_b32_e32 v7, s10
	s_and_saveexec_b64 s[2:3], vcc
	s_cbranch_execz .LBB13_16
; %bb.15:
	v_ashrrev_i32_e32 v7, 31, v6
	v_lshl_add_u64 v[12:13], v[6:7], 2, s[16:17]
	global_load_dword v7, v[12:13], off
	s_waitcnt vmcnt(0)
	v_subrev_u32_e32 v7, s4, v7
.LBB13_16:
	s_or_b64 exec, exec, s[2:3]
	v_cmp_lt_i32_e32 vcc, v8, v15
	v_mov_b32_e32 v9, s10
	s_and_saveexec_b64 s[2:3], vcc
	s_cbranch_execz .LBB13_18
; %bb.17:
	v_ashrrev_i32_e32 v9, 31, v8
	s_waitcnt lgkmcnt(0)
	v_lshl_add_u64 v[12:13], v[8:9], 2, s[18:19]
	global_load_dword v9, v[12:13], off
	s_waitcnt vmcnt(0)
	v_subrev_u32_e32 v9, s5, v9
.LBB13_18:
	s_or_b64 exec, exec, s[2:3]
	v_cndmask_b32_e64 v11, 0, 1, s[12:13]
	v_mov_b32_e32 v12, 0
	ds_write_b32 v12, v11 offset:512
	s_waitcnt lgkmcnt(0)
	; wave barrier
	ds_read_b32 v11, v12 offset:512
	s_waitcnt lgkmcnt(0)
	v_cmp_ne_u32_e32 vcc, 0, v11
	s_cbranch_vccz .LBB13_20
.LBB13_19:
	s_endpgm
.LBB13_20:
	s_load_dwordx4 s[12:15], s[0:1], 0x58
	s_load_dwordx2 s[20:21], s[0:1], 0x28
	s_load_dwordx2 s[22:23], s[0:1], 0x48
	v_and_b32_e32 v14, 7, v0
	v_lshrrev_b32_e32 v16, 3, v0
	v_min_i32_e32 v7, v9, v7
	v_max_i32_e32 v9, v16, v14
	s_cmp_lg_u32 s8, 0
	v_lshlrev_b32_e32 v26, 3, v0
	v_cmp_gt_i32_e64 s[0:1], s11, v9
	s_cselect_b64 s[24:25], -1, 0
	s_cmp_eq_u32 s8, 0
	v_lshlrev_b32_e32 v9, 3, v14
	v_and_b32_e32 v0, 56, v0
	v_lshl_or_b32 v27, v16, 6, v9
	v_lshl_or_b32 v28, v14, 6, v0
	s_cselect_b64 vcc, -1, 0
	v_mov_b32_e32 v17, 0x200
	v_mov_b32_e32 v19, 0x204
	v_cndmask_b32_e32 v0, v16, v14, vcc
	v_cndmask_b32_e32 v18, v14, v16, vcc
	;; [unrolled: 1-line block ×3, first 2 shown]
	s_mul_i32 s7, s11, s11
	v_mov_b32_e32 v13, v12
	v_mov_b32_e32 v30, 1
	s_branch .LBB13_22
.LBB13_21:                              ;   in Loop: Header=BB13_22 Depth=1
	s_or_b64 exec, exec, s[2:3]
	v_cmp_le_i32_e32 vcc, s10, v7
	; wave barrier
	s_nop 1
	v_cndmask_b32_e64 v9, 0, 1, vcc
	; wave barrier
	ds_write_b32 v17, v9
	s_waitcnt lgkmcnt(0)
	; wave barrier
	ds_read_b32 v9, v12 offset:512
	v_add_u32_e32 v10, 1, v10
	s_waitcnt lgkmcnt(0)
	v_cmp_eq_u32_e32 vcc, 0, v9
	s_cbranch_vccz .LBB13_19
.LBB13_22:                              ; =>This Loop Header: Depth=1
                                        ;     Child Loop BB13_25 Depth 2
                                        ;     Child Loop BB13_40 Depth 2
	v_mov_b32_e32 v11, v7
	v_cmp_lt_i32_e32 vcc, v6, v1
	v_mov_b32_e32 v7, s10
	ds_write_b32 v19, v12
	ds_write_b64 v26, v[12:13]
	s_waitcnt lgkmcnt(0)
	; wave barrier
	s_and_saveexec_b64 s[8:9], vcc
	s_cbranch_execz .LBB13_37
; %bb.23:                               ;   in Loop: Header=BB13_22 Depth=1
	v_mul_lo_u32 v7, s11, v6
	v_add_u32_e32 v9, v14, v7
	v_add_u32_e32 v7, v16, v7
	v_mad_u64_u32 v[22:23], s[2:3], s11, v7, v[14:15]
	v_ashrrev_i32_e32 v7, 31, v6
	v_mad_u64_u32 v[20:21], s[2:3], s11, v9, v[16:17]
	v_lshl_add_u64 v[24:25], v[6:7], 2, s[16:17]
	s_mov_b64 s[26:27], 0
	v_mov_b32_e32 v9, 0
	v_mov_b32_e32 v7, s10
	s_branch .LBB13_25
.LBB13_24:                              ;   in Loop: Header=BB13_25 Depth=2
	s_or_b64 exec, exec, s[30:31]
	s_and_b64 s[2:3], exec, s[28:29]
	v_mov_b32_e32 v23, v6
	s_or_b64 s[26:27], s[2:3], s[26:27]
	v_mov_b32_e32 v6, v21
	s_andn2_b64 exec, exec, s[26:27]
	s_cbranch_execz .LBB13_36
.LBB13_25:                              ;   Parent Loop BB13_22 Depth=1
                                        ; =>  This Inner Loop Header: Depth=2
	global_load_dword v21, v[24:25], off
	s_waitcnt vmcnt(0)
	v_subrev_u32_e32 v21, s4, v21
	v_cmp_le_i32_e64 s[2:3], v21, v11
	s_and_saveexec_b64 s[28:29], s[2:3]
	s_xor_b64 s[28:29], exec, s[28:29]
	s_cbranch_execz .LBB13_32
; %bb.26:                               ;   in Loop: Header=BB13_25 Depth=2
	ds_write_b32 v19, v30
	s_and_saveexec_b64 s[30:31], s[0:1]
	s_cbranch_execz .LBB13_31
; %bb.27:                               ;   in Loop: Header=BB13_25 Depth=2
	s_mov_b64 s[34:35], -1
	s_and_b64 vcc, exec, s[24:25]
	s_cbranch_vccz .LBB13_29
; %bb.28:                               ;   in Loop: Header=BB13_25 Depth=2
	v_add_u32_e32 v32, v22, v9
	v_ashrrev_i32_e32 v33, 31, v32
	v_lshl_add_u64 v[32:33], v[32:33], 3, s[20:21]
	global_load_dwordx2 v[32:33], v[32:33], off
	s_mov_b64 s[34:35], 0
	s_waitcnt vmcnt(0)
	v_mul_f64 v[32:33], v[2:3], v[32:33]
	ds_write_b64 v27, v[32:33]
.LBB13_29:                              ;   in Loop: Header=BB13_25 Depth=2
	s_andn2_b64 vcc, exec, s[34:35]
	s_cbranch_vccnz .LBB13_31
; %bb.30:                               ;   in Loop: Header=BB13_25 Depth=2
	v_add_u32_e32 v32, v20, v9
	v_ashrrev_i32_e32 v33, 31, v32
	v_lshl_add_u64 v[32:33], v[32:33], 3, s[20:21]
	global_load_dwordx2 v[32:33], v[32:33], off
	s_waitcnt vmcnt(0)
	v_mul_f64 v[32:33], v[2:3], v[32:33]
	ds_write_b64 v28, v[32:33]
.LBB13_31:                              ;   in Loop: Header=BB13_25 Depth=2
	s_or_b64 exec, exec, s[30:31]
                                        ; implicit-def: $vgpr21
	s_andn2_saveexec_b64 s[28:29], s[28:29]
	s_branch .LBB13_33
.LBB13_32:                              ;   in Loop: Header=BB13_25 Depth=2
	s_andn2_saveexec_b64 s[28:29], s[28:29]
.LBB13_33:                              ;   in Loop: Header=BB13_25 Depth=2
	v_min_i32_e32 v7, v21, v7
; %bb.34:                               ;   in Loop: Header=BB13_25 Depth=2
	s_or_b64 exec, exec, s[28:29]
	s_mov_b64 s[28:29], -1
                                        ; implicit-def: $vgpr21
	s_and_saveexec_b64 s[30:31], s[2:3]
	s_cbranch_execz .LBB13_24
; %bb.35:                               ;   in Loop: Header=BB13_25 Depth=2
	v_add_u32_e32 v21, 1, v6
	v_cmp_ge_i32_e32 vcc, v21, v1
	v_add_u32_e32 v9, s7, v9
	v_lshl_add_u64 v[24:25], v[24:25], 0, 4
	s_orn2_b64 s[28:29], vcc, exec
	v_mov_b32_e32 v6, v1
	s_branch .LBB13_24
.LBB13_36:                              ;   in Loop: Header=BB13_22 Depth=1
	s_or_b64 exec, exec, s[26:27]
	v_mov_b32_e32 v6, v23
.LBB13_37:                              ;   in Loop: Header=BB13_22 Depth=1
	s_or_b64 exec, exec, s[8:9]
	v_cmp_lt_i32_e32 vcc, v8, v15
	s_waitcnt lgkmcnt(0)
	; wave barrier
	s_and_saveexec_b64 s[8:9], vcc
	s_cbranch_execz .LBB13_52
; %bb.38:                               ;   in Loop: Header=BB13_22 Depth=1
	v_mul_lo_u32 v9, s11, v8
	v_add_u32_e32 v20, v14, v9
	v_add_u32_e32 v9, v16, v9
	v_mad_u64_u32 v[22:23], s[2:3], s11, v9, v[14:15]
	v_ashrrev_i32_e32 v9, 31, v8
	v_mad_u64_u32 v[20:21], s[2:3], s11, v20, v[16:17]
	v_lshl_add_u64 v[24:25], v[8:9], 2, s[18:19]
	s_mov_b64 s[26:27], 0
	v_mov_b32_e32 v9, 0
	s_branch .LBB13_40
.LBB13_39:                              ;   in Loop: Header=BB13_40 Depth=2
	s_or_b64 exec, exec, s[30:31]
	s_and_b64 s[2:3], exec, s[28:29]
	v_mov_b32_e32 v23, v8
	s_or_b64 s[26:27], s[2:3], s[26:27]
	v_mov_b32_e32 v8, v21
	s_andn2_b64 exec, exec, s[26:27]
	s_cbranch_execz .LBB13_51
.LBB13_40:                              ;   Parent Loop BB13_22 Depth=1
                                        ; =>  This Inner Loop Header: Depth=2
	global_load_dword v21, v[24:25], off
	s_waitcnt vmcnt(0)
	v_subrev_u32_e32 v21, s5, v21
	v_cmp_le_i32_e64 s[2:3], v21, v11
	s_and_saveexec_b64 s[28:29], s[2:3]
	s_xor_b64 s[28:29], exec, s[28:29]
	s_cbranch_execz .LBB13_47
; %bb.41:                               ;   in Loop: Header=BB13_40 Depth=2
	ds_write_b32 v19, v30
	s_and_saveexec_b64 s[30:31], s[0:1]
	s_cbranch_execz .LBB13_46
; %bb.42:                               ;   in Loop: Header=BB13_40 Depth=2
	s_mov_b64 s[34:35], -1
	s_and_b64 vcc, exec, s[24:25]
	s_cbranch_vccz .LBB13_44
; %bb.43:                               ;   in Loop: Header=BB13_40 Depth=2
	v_add_u32_e32 v32, v22, v9
	v_ashrrev_i32_e32 v33, 31, v32
	v_lshl_add_u64 v[32:33], v[32:33], 3, s[22:23]
	global_load_dwordx2 v[32:33], v[32:33], off
	ds_read_b64 v[34:35], v27
	s_mov_b64 s[34:35], 0
	s_waitcnt vmcnt(0) lgkmcnt(0)
	v_fmac_f64_e32 v[34:35], v[4:5], v[32:33]
	ds_write_b64 v27, v[34:35]
.LBB13_44:                              ;   in Loop: Header=BB13_40 Depth=2
	s_andn2_b64 vcc, exec, s[34:35]
	s_cbranch_vccnz .LBB13_46
; %bb.45:                               ;   in Loop: Header=BB13_40 Depth=2
	v_add_u32_e32 v32, v20, v9
	v_ashrrev_i32_e32 v33, 31, v32
	v_lshl_add_u64 v[32:33], v[32:33], 3, s[22:23]
	global_load_dwordx2 v[32:33], v[32:33], off
	ds_read_b64 v[34:35], v28
	s_waitcnt vmcnt(0) lgkmcnt(0)
	v_fmac_f64_e32 v[34:35], v[4:5], v[32:33]
	ds_write_b64 v28, v[34:35]
.LBB13_46:                              ;   in Loop: Header=BB13_40 Depth=2
	s_or_b64 exec, exec, s[30:31]
                                        ; implicit-def: $vgpr21
	s_andn2_saveexec_b64 s[28:29], s[28:29]
	s_branch .LBB13_48
.LBB13_47:                              ;   in Loop: Header=BB13_40 Depth=2
	s_andn2_saveexec_b64 s[28:29], s[28:29]
.LBB13_48:                              ;   in Loop: Header=BB13_40 Depth=2
	v_min_i32_e32 v7, v21, v7
; %bb.49:                               ;   in Loop: Header=BB13_40 Depth=2
	s_or_b64 exec, exec, s[28:29]
	s_mov_b64 s[28:29], -1
                                        ; implicit-def: $vgpr21
	s_and_saveexec_b64 s[30:31], s[2:3]
	s_cbranch_execz .LBB13_39
; %bb.50:                               ;   in Loop: Header=BB13_40 Depth=2
	v_add_u32_e32 v21, 1, v8
	v_cmp_ge_i32_e32 vcc, v21, v15
	v_add_u32_e32 v9, s7, v9
	v_lshl_add_u64 v[24:25], v[24:25], 0, 4
	s_orn2_b64 s[28:29], vcc, exec
	v_mov_b32_e32 v8, v15
	s_branch .LBB13_39
.LBB13_51:                              ;   in Loop: Header=BB13_22 Depth=1
	s_or_b64 exec, exec, s[26:27]
	v_mov_b32_e32 v8, v23
.LBB13_52:                              ;   in Loop: Header=BB13_22 Depth=1
	s_or_b64 exec, exec, s[8:9]
	s_waitcnt lgkmcnt(0)
	; wave barrier
	ds_read_b32 v9, v19
	s_waitcnt lgkmcnt(0)
	v_cmp_ne_u32_e32 vcc, 0, v9
	s_and_saveexec_b64 s[2:3], vcc
	s_cbranch_execz .LBB13_21
; %bb.53:                               ;   in Loop: Header=BB13_22 Depth=1
	v_add_u32_e32 v9, s6, v11
	v_ashrrev_i32_e32 v11, 31, v10
	v_lshl_add_u64 v[20:21], v[10:11], 2, s[12:13]
	global_store_dword v[20:21], v9, off
	s_and_b64 exec, exec, s[0:1]
	s_cbranch_execz .LBB13_21
; %bb.54:                               ;   in Loop: Header=BB13_22 Depth=1
	ds_read_b64 v[20:21], v29
	v_mad_u64_u32 v[22:23], s[8:9], v10, s11, v[0:1]
	v_mad_u64_u32 v[22:23], s[8:9], v22, s11, v[18:19]
	v_ashrrev_i32_e32 v23, 31, v22
	v_lshl_add_u64 v[22:23], v[22:23], 3, s[14:15]
	s_waitcnt lgkmcnt(0)
	global_store_dwordx2 v[22:23], v[20:21], off
	s_branch .LBB13_21
	.section	.rodata,"a",@progbits
	.p2align	6, 0x0
	.amdhsa_kernel _ZN9rocsparseL35bsrgeam_wf_per_row_multipass_kernelILj64ELj8EdEEv20rocsparse_direction_iiiNS_24const_host_device_scalarIT1_EEPKiS6_PKS3_S4_S6_S6_S8_S6_PiPS3_21rocsparse_index_base_SB_SB_b
		.amdhsa_group_segment_fixed_size 520
		.amdhsa_private_segment_fixed_size 0
		.amdhsa_kernarg_size 120
		.amdhsa_user_sgpr_count 2
		.amdhsa_user_sgpr_dispatch_ptr 0
		.amdhsa_user_sgpr_queue_ptr 0
		.amdhsa_user_sgpr_kernarg_segment_ptr 1
		.amdhsa_user_sgpr_dispatch_id 0
		.amdhsa_user_sgpr_kernarg_preload_length 0
		.amdhsa_user_sgpr_kernarg_preload_offset 0
		.amdhsa_user_sgpr_private_segment_size 0
		.amdhsa_uses_dynamic_stack 0
		.amdhsa_enable_private_segment 0
		.amdhsa_system_sgpr_workgroup_id_x 1
		.amdhsa_system_sgpr_workgroup_id_y 0
		.amdhsa_system_sgpr_workgroup_id_z 0
		.amdhsa_system_sgpr_workgroup_info 0
		.amdhsa_system_vgpr_workitem_id 0
		.amdhsa_next_free_vgpr 36
		.amdhsa_next_free_sgpr 36
		.amdhsa_accum_offset 36
		.amdhsa_reserve_vcc 1
		.amdhsa_float_round_mode_32 0
		.amdhsa_float_round_mode_16_64 0
		.amdhsa_float_denorm_mode_32 3
		.amdhsa_float_denorm_mode_16_64 3
		.amdhsa_dx10_clamp 1
		.amdhsa_ieee_mode 1
		.amdhsa_fp16_overflow 0
		.amdhsa_tg_split 0
		.amdhsa_exception_fp_ieee_invalid_op 0
		.amdhsa_exception_fp_denorm_src 0
		.amdhsa_exception_fp_ieee_div_zero 0
		.amdhsa_exception_fp_ieee_overflow 0
		.amdhsa_exception_fp_ieee_underflow 0
		.amdhsa_exception_fp_ieee_inexact 0
		.amdhsa_exception_int_div_zero 0
	.end_amdhsa_kernel
	.section	.text._ZN9rocsparseL35bsrgeam_wf_per_row_multipass_kernelILj64ELj8EdEEv20rocsparse_direction_iiiNS_24const_host_device_scalarIT1_EEPKiS6_PKS3_S4_S6_S6_S8_S6_PiPS3_21rocsparse_index_base_SB_SB_b,"axG",@progbits,_ZN9rocsparseL35bsrgeam_wf_per_row_multipass_kernelILj64ELj8EdEEv20rocsparse_direction_iiiNS_24const_host_device_scalarIT1_EEPKiS6_PKS3_S4_S6_S6_S8_S6_PiPS3_21rocsparse_index_base_SB_SB_b,comdat
.Lfunc_end13:
	.size	_ZN9rocsparseL35bsrgeam_wf_per_row_multipass_kernelILj64ELj8EdEEv20rocsparse_direction_iiiNS_24const_host_device_scalarIT1_EEPKiS6_PKS3_S4_S6_S6_S8_S6_PiPS3_21rocsparse_index_base_SB_SB_b, .Lfunc_end13-_ZN9rocsparseL35bsrgeam_wf_per_row_multipass_kernelILj64ELj8EdEEv20rocsparse_direction_iiiNS_24const_host_device_scalarIT1_EEPKiS6_PKS3_S4_S6_S6_S8_S6_PiPS3_21rocsparse_index_base_SB_SB_b
                                        ; -- End function
	.set _ZN9rocsparseL35bsrgeam_wf_per_row_multipass_kernelILj64ELj8EdEEv20rocsparse_direction_iiiNS_24const_host_device_scalarIT1_EEPKiS6_PKS3_S4_S6_S6_S8_S6_PiPS3_21rocsparse_index_base_SB_SB_b.num_vgpr, 36
	.set _ZN9rocsparseL35bsrgeam_wf_per_row_multipass_kernelILj64ELj8EdEEv20rocsparse_direction_iiiNS_24const_host_device_scalarIT1_EEPKiS6_PKS3_S4_S6_S6_S8_S6_PiPS3_21rocsparse_index_base_SB_SB_b.num_agpr, 0
	.set _ZN9rocsparseL35bsrgeam_wf_per_row_multipass_kernelILj64ELj8EdEEv20rocsparse_direction_iiiNS_24const_host_device_scalarIT1_EEPKiS6_PKS3_S4_S6_S6_S8_S6_PiPS3_21rocsparse_index_base_SB_SB_b.numbered_sgpr, 36
	.set _ZN9rocsparseL35bsrgeam_wf_per_row_multipass_kernelILj64ELj8EdEEv20rocsparse_direction_iiiNS_24const_host_device_scalarIT1_EEPKiS6_PKS3_S4_S6_S6_S8_S6_PiPS3_21rocsparse_index_base_SB_SB_b.num_named_barrier, 0
	.set _ZN9rocsparseL35bsrgeam_wf_per_row_multipass_kernelILj64ELj8EdEEv20rocsparse_direction_iiiNS_24const_host_device_scalarIT1_EEPKiS6_PKS3_S4_S6_S6_S8_S6_PiPS3_21rocsparse_index_base_SB_SB_b.private_seg_size, 0
	.set _ZN9rocsparseL35bsrgeam_wf_per_row_multipass_kernelILj64ELj8EdEEv20rocsparse_direction_iiiNS_24const_host_device_scalarIT1_EEPKiS6_PKS3_S4_S6_S6_S8_S6_PiPS3_21rocsparse_index_base_SB_SB_b.uses_vcc, 1
	.set _ZN9rocsparseL35bsrgeam_wf_per_row_multipass_kernelILj64ELj8EdEEv20rocsparse_direction_iiiNS_24const_host_device_scalarIT1_EEPKiS6_PKS3_S4_S6_S6_S8_S6_PiPS3_21rocsparse_index_base_SB_SB_b.uses_flat_scratch, 0
	.set _ZN9rocsparseL35bsrgeam_wf_per_row_multipass_kernelILj64ELj8EdEEv20rocsparse_direction_iiiNS_24const_host_device_scalarIT1_EEPKiS6_PKS3_S4_S6_S6_S8_S6_PiPS3_21rocsparse_index_base_SB_SB_b.has_dyn_sized_stack, 0
	.set _ZN9rocsparseL35bsrgeam_wf_per_row_multipass_kernelILj64ELj8EdEEv20rocsparse_direction_iiiNS_24const_host_device_scalarIT1_EEPKiS6_PKS3_S4_S6_S6_S8_S6_PiPS3_21rocsparse_index_base_SB_SB_b.has_recursion, 0
	.set _ZN9rocsparseL35bsrgeam_wf_per_row_multipass_kernelILj64ELj8EdEEv20rocsparse_direction_iiiNS_24const_host_device_scalarIT1_EEPKiS6_PKS3_S4_S6_S6_S8_S6_PiPS3_21rocsparse_index_base_SB_SB_b.has_indirect_call, 0
	.section	.AMDGPU.csdata,"",@progbits
; Kernel info:
; codeLenInByte = 1592
; TotalNumSgprs: 42
; NumVgprs: 36
; NumAgprs: 0
; TotalNumVgprs: 36
; ScratchSize: 0
; MemoryBound: 0
; FloatMode: 240
; IeeeMode: 1
; LDSByteSize: 520 bytes/workgroup (compile time only)
; SGPRBlocks: 5
; VGPRBlocks: 4
; NumSGPRsForWavesPerEU: 42
; NumVGPRsForWavesPerEU: 36
; AccumOffset: 36
; Occupancy: 8
; WaveLimiterHint : 1
; COMPUTE_PGM_RSRC2:SCRATCH_EN: 0
; COMPUTE_PGM_RSRC2:USER_SGPR: 2
; COMPUTE_PGM_RSRC2:TRAP_HANDLER: 0
; COMPUTE_PGM_RSRC2:TGID_X_EN: 1
; COMPUTE_PGM_RSRC2:TGID_Y_EN: 0
; COMPUTE_PGM_RSRC2:TGID_Z_EN: 0
; COMPUTE_PGM_RSRC2:TIDIG_COMP_CNT: 0
; COMPUTE_PGM_RSRC3_GFX90A:ACCUM_OFFSET: 8
; COMPUTE_PGM_RSRC3_GFX90A:TG_SPLIT: 0
	.section	.text._ZN9rocsparseL39bsrgeam_block_per_row_multipass_kernel2ILj256ELj16EdEEv20rocsparse_direction_iiiNS_24const_host_device_scalarIT1_EEPKiS6_PKS3_S4_S6_S6_S8_S6_PiPS3_21rocsparse_index_base_SB_SB_b,"axG",@progbits,_ZN9rocsparseL39bsrgeam_block_per_row_multipass_kernel2ILj256ELj16EdEEv20rocsparse_direction_iiiNS_24const_host_device_scalarIT1_EEPKiS6_PKS3_S4_S6_S6_S8_S6_PiPS3_21rocsparse_index_base_SB_SB_b,comdat
	.globl	_ZN9rocsparseL39bsrgeam_block_per_row_multipass_kernel2ILj256ELj16EdEEv20rocsparse_direction_iiiNS_24const_host_device_scalarIT1_EEPKiS6_PKS3_S4_S6_S6_S8_S6_PiPS3_21rocsparse_index_base_SB_SB_b ; -- Begin function _ZN9rocsparseL39bsrgeam_block_per_row_multipass_kernel2ILj256ELj16EdEEv20rocsparse_direction_iiiNS_24const_host_device_scalarIT1_EEPKiS6_PKS3_S4_S6_S6_S8_S6_PiPS3_21rocsparse_index_base_SB_SB_b
	.p2align	8
	.type	_ZN9rocsparseL39bsrgeam_block_per_row_multipass_kernel2ILj256ELj16EdEEv20rocsparse_direction_iiiNS_24const_host_device_scalarIT1_EEPKiS6_PKS3_S4_S6_S6_S8_S6_PiPS3_21rocsparse_index_base_SB_SB_b,@function
_ZN9rocsparseL39bsrgeam_block_per_row_multipass_kernel2ILj256ELj16EdEEv20rocsparse_direction_iiiNS_24const_host_device_scalarIT1_EEPKiS6_PKS3_S4_S6_S6_S8_S6_PiPS3_21rocsparse_index_base_SB_SB_b: ; @_ZN9rocsparseL39bsrgeam_block_per_row_multipass_kernel2ILj256ELj16EdEEv20rocsparse_direction_iiiNS_24const_host_device_scalarIT1_EEPKiS6_PKS3_S4_S6_S6_S8_S6_PiPS3_21rocsparse_index_base_SB_SB_b
; %bb.0:
	s_load_dwordx4 s[4:7], s[0:1], 0x68
	s_load_dwordx2 s[18:19], s[0:1], 0x50
	s_load_dwordx4 s[12:15], s[0:1], 0x10
	s_load_dwordx4 s[8:11], s[0:1], 0x30
	s_waitcnt lgkmcnt(0)
	s_bitcmp1_b32 s7, 0
	s_cselect_b64 s[20:21], -1, 0
	s_xor_b64 s[16:17], s[20:21], -1
	s_and_b64 vcc, exec, s[20:21]
	v_mov_b64_e32 v[2:3], s[12:13]
	s_cbranch_vccnz .LBB14_2
; %bb.1:
	v_mov_b64_e32 v[2:3], s[12:13]
	flat_load_dwordx2 v[2:3], v[2:3]
.LBB14_2:
	s_load_dwordx2 s[12:13], s[0:1], 0x20
	s_andn2_b64 vcc, exec, s[16:17]
	v_mov_b64_e32 v[4:5], s[8:9]
	s_cbranch_vccnz .LBB14_4
; %bb.3:
	v_mov_b64_e32 v[4:5], s[8:9]
	flat_load_dwordx2 v[4:5], v[4:5]
.LBB14_4:
	s_ashr_i32 s3, s2, 31
	s_lshl_b64 s[8:9], s[2:3], 2
	s_add_u32 s16, s14, s8
	s_addc_u32 s17, s15, s9
	s_load_dwordx2 s[24:25], s[16:17], 0x0
	s_load_dwordx2 s[2:3], s[0:1], 0x40
	;; [unrolled: 1-line block ×3, first 2 shown]
	s_waitcnt lgkmcnt(0)
	s_sub_i32 s16, s24, s4
	s_add_u32 s10, s10, s8
	s_addc_u32 s11, s11, s9
	s_load_dwordx2 s[26:27], s[10:11], 0x0
	s_add_u32 s22, s18, s8
	s_addc_u32 s23, s19, s9
	s_cmp_ge_i32 s24, s25
	s_mov_b32 s17, s14
	s_cbranch_scc1 .LBB14_6
; %bb.5:
	s_ashr_i32 s17, s16, 31
	s_lshl_b64 s[8:9], s[16:17], 2
	s_add_u32 s8, s12, s8
	s_addc_u32 s9, s13, s9
	s_load_dword s7, s[8:9], 0x0
	s_waitcnt lgkmcnt(0)
	s_sub_i32 s17, s7, s4
.LBB14_6:
	s_load_dwordx4 s[8:11], s[0:1], 0x58
	s_load_dwordx2 s[18:19], s[0:1], 0x28
	s_load_dwordx2 s[20:21], s[0:1], 0x48
	s_load_dword s24, s[22:23], 0x0
	s_waitcnt lgkmcnt(0)
	s_sub_i32 s22, s26, s5
	s_cmp_ge_i32 s26, s27
	s_mov_b32 s23, s14
	s_cbranch_scc1 .LBB14_8
; %bb.7:
	s_ashr_i32 s23, s22, 31
	s_lshl_b64 s[28:29], s[22:23], 2
	s_add_u32 s28, s2, s28
	s_addc_u32 s29, s3, s29
	s_load_dword s7, s[28:29], 0x0
	s_waitcnt lgkmcnt(0)
	s_sub_i32 s23, s7, s5
.LBB14_8:
	s_load_dword s26, s[0:1], 0x0
	v_and_b32_e32 v6, 15, v0
	v_lshrrev_b32_e32 v8, 4, v0
	v_cmp_gt_u32_e32 vcc, s15, v6
	v_cmp_gt_i32_e64 s[0:1], s15, v8
	s_sub_i32 s7, s25, s4
	s_sub_i32 s33, s27, s5
	;; [unrolled: 1-line block ×3, first 2 shown]
	s_min_i32 s25, s23, s17
	s_and_b64 s[0:1], vcc, s[0:1]
	v_lshlrev_b32_e32 v7, 3, v0
	v_lshlrev_b32_e32 v0, 3, v8
	s_waitcnt lgkmcnt(0)
	s_cmp_lg_u32 s26, 0
	v_lshlrev_b32_e32 v10, 7, v6
	v_mov_b32_e32 v1, 0
	s_cselect_b64 s[26:27], -1, 0
	s_mul_i32 s38, s15, s15
	v_mov_b32_e32 v16, v1
	v_mov_b32_e32 v17, v1
	;; [unrolled: 1-line block ×3, first 2 shown]
	v_add_u32_e32 v14, v0, v10
	s_branch .LBB14_11
.LBB14_9:                               ;   in Loop: Header=BB14_11 Depth=1
	s_or_b64 exec, exec, s[28:29]
.LBB14_10:                              ;   in Loop: Header=BB14_11 Depth=1
	s_barrier
	ds_read_b32 v0, v1 offset:2048
	s_mov_b32 s25, s23
	s_waitcnt lgkmcnt(0)
	s_barrier
	v_readfirstlane_b32 s17, v0
	s_add_i32 s24, s17, s24
	s_cmp_lt_i32 s23, s14
	s_cbranch_scc0 .LBB14_49
.LBB14_11:                              ; =>This Loop Header: Depth=1
                                        ;     Child Loop BB14_13 Depth 2
                                        ;     Child Loop BB14_29 Depth 2
	s_cmp_ge_i32 s16, s7
	ds_write_b32 v1, v1 offset:2048
	ds_write_b64 v7, v[16:17]
	s_waitcnt lgkmcnt(0)
	s_barrier
	s_cbranch_scc1 .LBB14_26
; %bb.12:                               ;   in Loop: Header=BB14_11 Depth=1
	s_mul_i32 s17, s15, s16
	v_add_u32_e32 v0, s17, v8
	v_mad_u64_u32 v[10:11], s[28:29], s15, v0, v[6:7]
	v_add_u32_e32 v0, s17, v6
	v_mad_u64_u32 v[12:13], s[28:29], s15, v0, v[8:9]
	s_ashr_i32 s17, s16, 31
	s_lshl_b64 s[28:29], s[16:17], 2
	s_add_u32 s28, s12, s28
	s_addc_u32 s29, s13, s29
	s_mov_b32 s23, 0
	s_mov_b32 s39, s14
.LBB14_13:                              ;   Parent Loop BB14_11 Depth=1
                                        ; =>  This Inner Loop Header: Depth=2
	s_load_dword s17, s[28:29], 0x0
	s_mov_b64 s[34:35], -1
	s_waitcnt lgkmcnt(0)
	s_sub_i32 s36, s17, s4
	s_cmp_eq_u32 s36, s25
	s_cselect_b64 s[30:31], -1, 0
	s_cmp_lg_u32 s36, s25
                                        ; implicit-def: $sgpr17
	s_cbranch_scc1 .LBB14_17
; %bb.14:                               ;   in Loop: Header=BB14_13 Depth=2
	s_andn2_b64 vcc, exec, s[34:35]
	s_cbranch_vccz .LBB14_18
.LBB14_15:                              ;   in Loop: Header=BB14_13 Depth=2
	s_andn2_b64 vcc, exec, s[30:31]
	s_mov_b64 s[30:31], -1
	s_cbranch_vccnz .LBB14_23
.LBB14_16:                              ;   in Loop: Header=BB14_13 Depth=2
	s_add_i32 s16, s16, 1
	s_add_i32 s23, s23, s38
	s_add_u32 s28, s28, 4
	s_addc_u32 s29, s29, 0
	s_cmp_ge_i32 s16, s7
	s_cselect_b64 s[30:31], -1, 0
	s_andn2_b64 vcc, exec, s[30:31]
	s_cbranch_vccnz .LBB14_24
	s_branch .LBB14_27
.LBB14_17:                              ;   in Loop: Header=BB14_13 Depth=2
	s_min_i32 s17, s36, s39
	s_cbranch_execnz .LBB14_15
.LBB14_18:                              ;   in Loop: Header=BB14_13 Depth=2
	ds_write_b32 v1, v9 offset:2048
	s_and_saveexec_b64 s[34:35], s[0:1]
	s_cbranch_execz .LBB14_22
; %bb.19:                               ;   in Loop: Header=BB14_13 Depth=2
	s_and_b64 vcc, exec, s[26:27]
	s_cbranch_vccz .LBB14_25
; %bb.20:                               ;   in Loop: Header=BB14_13 Depth=2
	v_add_u32_e32 v0, s23, v12
	v_lshl_add_u64 v[18:19], v[0:1], 3, s[18:19]
	global_load_dwordx2 v[18:19], v[18:19], off
	s_waitcnt vmcnt(0)
	v_mul_f64 v[18:19], v[2:3], v[18:19]
	ds_write_b64 v14, v[18:19]
	s_cbranch_execnz .LBB14_22
.LBB14_21:                              ;   in Loop: Header=BB14_13 Depth=2
	v_add_u32_e32 v0, s23, v10
	v_lshl_add_u64 v[18:19], v[0:1], 3, s[18:19]
	global_load_dwordx2 v[18:19], v[18:19], off
	s_waitcnt vmcnt(0)
	v_mul_f64 v[18:19], v[2:3], v[18:19]
	ds_write_b64 v7, v[18:19]
.LBB14_22:                              ;   in Loop: Header=BB14_13 Depth=2
	s_or_b64 exec, exec, s[34:35]
	s_mov_b32 s17, s39
	s_andn2_b64 vcc, exec, s[30:31]
	s_mov_b64 s[30:31], -1
	s_cbranch_vccz .LBB14_16
.LBB14_23:                              ;   in Loop: Header=BB14_13 Depth=2
                                        ; implicit-def: $sgpr23
                                        ; implicit-def: $sgpr28_sgpr29
	s_andn2_b64 vcc, exec, s[30:31]
	s_cbranch_vccz .LBB14_27
.LBB14_24:                              ;   in Loop: Header=BB14_13 Depth=2
	s_mov_b32 s39, s17
	s_branch .LBB14_13
.LBB14_25:                              ;   in Loop: Header=BB14_13 Depth=2
	s_branch .LBB14_21
.LBB14_26:                              ;   in Loop: Header=BB14_11 Depth=1
	s_mov_b32 s17, s14
.LBB14_27:                              ;   in Loop: Header=BB14_11 Depth=1
	s_cmp_ge_i32 s22, s33
	s_waitcnt lgkmcnt(0)
	s_barrier
	s_cbranch_scc1 .LBB14_42
; %bb.28:                               ;   in Loop: Header=BB14_11 Depth=1
	s_mul_i32 s23, s15, s22
	v_add_u32_e32 v0, s23, v8
	v_mad_u64_u32 v[10:11], s[28:29], s15, v0, v[6:7]
	v_add_u32_e32 v0, s23, v6
	v_mad_u64_u32 v[12:13], s[28:29], s15, v0, v[8:9]
	s_ashr_i32 s23, s22, 31
	s_lshl_b64 s[28:29], s[22:23], 2
	s_add_u32 s28, s2, s28
	s_addc_u32 s29, s3, s29
	s_mov_b32 s39, 0
.LBB14_29:                              ;   Parent Loop BB14_11 Depth=1
                                        ; =>  This Inner Loop Header: Depth=2
	s_load_dword s23, s[28:29], 0x0
	s_mov_b64 s[34:35], -1
	s_waitcnt lgkmcnt(0)
	s_sub_i32 s36, s23, s5
	s_cmp_eq_u32 s36, s25
	s_cselect_b64 s[30:31], -1, 0
	s_cmp_lg_u32 s36, s25
                                        ; implicit-def: $sgpr23
	s_cbranch_scc1 .LBB14_33
; %bb.30:                               ;   in Loop: Header=BB14_29 Depth=2
	s_andn2_b64 vcc, exec, s[34:35]
	s_cbranch_vccz .LBB14_34
.LBB14_31:                              ;   in Loop: Header=BB14_29 Depth=2
	s_andn2_b64 vcc, exec, s[30:31]
	s_mov_b64 s[30:31], -1
	s_cbranch_vccnz .LBB14_39
.LBB14_32:                              ;   in Loop: Header=BB14_29 Depth=2
	s_add_i32 s22, s22, 1
	s_add_i32 s39, s39, s38
	s_add_u32 s28, s28, 4
	s_addc_u32 s29, s29, 0
	s_cmp_ge_i32 s22, s33
	s_cselect_b64 s[30:31], -1, 0
	s_andn2_b64 vcc, exec, s[30:31]
	s_cbranch_vccnz .LBB14_40
	s_branch .LBB14_43
.LBB14_33:                              ;   in Loop: Header=BB14_29 Depth=2
	s_min_i32 s23, s36, s17
	s_cbranch_execnz .LBB14_31
.LBB14_34:                              ;   in Loop: Header=BB14_29 Depth=2
	ds_write_b32 v1, v9 offset:2048
	s_and_saveexec_b64 s[34:35], s[0:1]
	s_cbranch_execz .LBB14_38
; %bb.35:                               ;   in Loop: Header=BB14_29 Depth=2
	s_and_b64 vcc, exec, s[26:27]
	s_cbranch_vccz .LBB14_41
; %bb.36:                               ;   in Loop: Header=BB14_29 Depth=2
	v_add_u32_e32 v0, s39, v12
	v_lshl_add_u64 v[18:19], v[0:1], 3, s[20:21]
	global_load_dwordx2 v[18:19], v[18:19], off
	ds_read_b64 v[20:21], v14
	s_waitcnt vmcnt(0) lgkmcnt(0)
	v_fmac_f64_e32 v[20:21], v[4:5], v[18:19]
	ds_write_b64 v14, v[20:21]
	s_cbranch_execnz .LBB14_38
.LBB14_37:                              ;   in Loop: Header=BB14_29 Depth=2
	v_add_u32_e32 v0, s39, v10
	v_lshl_add_u64 v[18:19], v[0:1], 3, s[20:21]
	global_load_dwordx2 v[18:19], v[18:19], off
	ds_read_b64 v[20:21], v7
	s_waitcnt vmcnt(0) lgkmcnt(0)
	v_fmac_f64_e32 v[20:21], v[4:5], v[18:19]
	ds_write_b64 v7, v[20:21]
.LBB14_38:                              ;   in Loop: Header=BB14_29 Depth=2
	s_or_b64 exec, exec, s[34:35]
	s_mov_b32 s23, s17
	s_andn2_b64 vcc, exec, s[30:31]
	s_mov_b64 s[30:31], -1
	s_cbranch_vccz .LBB14_32
.LBB14_39:                              ;   in Loop: Header=BB14_29 Depth=2
                                        ; implicit-def: $sgpr39
                                        ; implicit-def: $sgpr28_sgpr29
	s_andn2_b64 vcc, exec, s[30:31]
	s_cbranch_vccz .LBB14_43
.LBB14_40:                              ;   in Loop: Header=BB14_29 Depth=2
	s_mov_b32 s17, s23
	s_branch .LBB14_29
.LBB14_41:                              ;   in Loop: Header=BB14_29 Depth=2
	s_branch .LBB14_37
.LBB14_42:                              ;   in Loop: Header=BB14_11 Depth=1
	s_mov_b32 s23, s17
.LBB14_43:                              ;   in Loop: Header=BB14_11 Depth=1
	s_waitcnt lgkmcnt(0)
	s_barrier
	ds_read_b32 v0, v1 offset:2048
	s_waitcnt lgkmcnt(0)
	v_cmp_eq_u32_e32 vcc, 0, v0
	s_cbranch_vccnz .LBB14_10
; %bb.44:                               ;   in Loop: Header=BB14_11 Depth=1
	s_add_i32 s17, s25, s6
	s_ashr_i32 s25, s24, 31
	s_lshl_b64 s[28:29], s[24:25], 2
	s_add_u32 s28, s8, s28
	s_addc_u32 s29, s9, s29
	v_mov_b32_e32 v0, s17
	global_store_dword v1, v0, s[28:29]
	s_and_saveexec_b64 s[28:29], s[0:1]
	s_cbranch_execz .LBB14_9
; %bb.45:                               ;   in Loop: Header=BB14_11 Depth=1
	s_mul_i32 s17, s24, s15
	s_and_b64 vcc, exec, s[26:27]
	s_cbranch_vccz .LBB14_47
; %bb.46:                               ;   in Loop: Header=BB14_11 Depth=1
	ds_read_b64 v[10:11], v14
	v_add_u32_e32 v0, s17, v6
	v_mad_u64_u32 v[12:13], s[30:31], v0, s15, v[8:9]
	v_mov_b32_e32 v13, v1
	v_lshl_add_u64 v[12:13], v[12:13], 3, s[10:11]
	s_waitcnt lgkmcnt(0)
	global_store_dwordx2 v[12:13], v[10:11], off
	s_cbranch_execnz .LBB14_9
	s_branch .LBB14_48
.LBB14_47:                              ;   in Loop: Header=BB14_11 Depth=1
.LBB14_48:                              ;   in Loop: Header=BB14_11 Depth=1
	ds_read_b64 v[10:11], v7
	v_add_u32_e32 v0, s17, v8
	v_mad_u64_u32 v[12:13], s[30:31], v0, s15, v[6:7]
	v_mov_b32_e32 v13, v1
	v_lshl_add_u64 v[12:13], v[12:13], 3, s[10:11]
	s_waitcnt lgkmcnt(0)
	global_store_dwordx2 v[12:13], v[10:11], off
	s_branch .LBB14_9
.LBB14_49:
	s_endpgm
	.section	.rodata,"a",@progbits
	.p2align	6, 0x0
	.amdhsa_kernel _ZN9rocsparseL39bsrgeam_block_per_row_multipass_kernel2ILj256ELj16EdEEv20rocsparse_direction_iiiNS_24const_host_device_scalarIT1_EEPKiS6_PKS3_S4_S6_S6_S8_S6_PiPS3_21rocsparse_index_base_SB_SB_b
		.amdhsa_group_segment_fixed_size 2056
		.amdhsa_private_segment_fixed_size 0
		.amdhsa_kernarg_size 120
		.amdhsa_user_sgpr_count 2
		.amdhsa_user_sgpr_dispatch_ptr 0
		.amdhsa_user_sgpr_queue_ptr 0
		.amdhsa_user_sgpr_kernarg_segment_ptr 1
		.amdhsa_user_sgpr_dispatch_id 0
		.amdhsa_user_sgpr_kernarg_preload_length 0
		.amdhsa_user_sgpr_kernarg_preload_offset 0
		.amdhsa_user_sgpr_private_segment_size 0
		.amdhsa_uses_dynamic_stack 0
		.amdhsa_enable_private_segment 0
		.amdhsa_system_sgpr_workgroup_id_x 1
		.amdhsa_system_sgpr_workgroup_id_y 0
		.amdhsa_system_sgpr_workgroup_id_z 0
		.amdhsa_system_sgpr_workgroup_info 0
		.amdhsa_system_vgpr_workitem_id 0
		.amdhsa_next_free_vgpr 22
		.amdhsa_next_free_sgpr 40
		.amdhsa_accum_offset 24
		.amdhsa_reserve_vcc 1
		.amdhsa_float_round_mode_32 0
		.amdhsa_float_round_mode_16_64 0
		.amdhsa_float_denorm_mode_32 3
		.amdhsa_float_denorm_mode_16_64 3
		.amdhsa_dx10_clamp 1
		.amdhsa_ieee_mode 1
		.amdhsa_fp16_overflow 0
		.amdhsa_tg_split 0
		.amdhsa_exception_fp_ieee_invalid_op 0
		.amdhsa_exception_fp_denorm_src 0
		.amdhsa_exception_fp_ieee_div_zero 0
		.amdhsa_exception_fp_ieee_overflow 0
		.amdhsa_exception_fp_ieee_underflow 0
		.amdhsa_exception_fp_ieee_inexact 0
		.amdhsa_exception_int_div_zero 0
	.end_amdhsa_kernel
	.section	.text._ZN9rocsparseL39bsrgeam_block_per_row_multipass_kernel2ILj256ELj16EdEEv20rocsparse_direction_iiiNS_24const_host_device_scalarIT1_EEPKiS6_PKS3_S4_S6_S6_S8_S6_PiPS3_21rocsparse_index_base_SB_SB_b,"axG",@progbits,_ZN9rocsparseL39bsrgeam_block_per_row_multipass_kernel2ILj256ELj16EdEEv20rocsparse_direction_iiiNS_24const_host_device_scalarIT1_EEPKiS6_PKS3_S4_S6_S6_S8_S6_PiPS3_21rocsparse_index_base_SB_SB_b,comdat
.Lfunc_end14:
	.size	_ZN9rocsparseL39bsrgeam_block_per_row_multipass_kernel2ILj256ELj16EdEEv20rocsparse_direction_iiiNS_24const_host_device_scalarIT1_EEPKiS6_PKS3_S4_S6_S6_S8_S6_PiPS3_21rocsparse_index_base_SB_SB_b, .Lfunc_end14-_ZN9rocsparseL39bsrgeam_block_per_row_multipass_kernel2ILj256ELj16EdEEv20rocsparse_direction_iiiNS_24const_host_device_scalarIT1_EEPKiS6_PKS3_S4_S6_S6_S8_S6_PiPS3_21rocsparse_index_base_SB_SB_b
                                        ; -- End function
	.set _ZN9rocsparseL39bsrgeam_block_per_row_multipass_kernel2ILj256ELj16EdEEv20rocsparse_direction_iiiNS_24const_host_device_scalarIT1_EEPKiS6_PKS3_S4_S6_S6_S8_S6_PiPS3_21rocsparse_index_base_SB_SB_b.num_vgpr, 22
	.set _ZN9rocsparseL39bsrgeam_block_per_row_multipass_kernel2ILj256ELj16EdEEv20rocsparse_direction_iiiNS_24const_host_device_scalarIT1_EEPKiS6_PKS3_S4_S6_S6_S8_S6_PiPS3_21rocsparse_index_base_SB_SB_b.num_agpr, 0
	.set _ZN9rocsparseL39bsrgeam_block_per_row_multipass_kernel2ILj256ELj16EdEEv20rocsparse_direction_iiiNS_24const_host_device_scalarIT1_EEPKiS6_PKS3_S4_S6_S6_S8_S6_PiPS3_21rocsparse_index_base_SB_SB_b.numbered_sgpr, 40
	.set _ZN9rocsparseL39bsrgeam_block_per_row_multipass_kernel2ILj256ELj16EdEEv20rocsparse_direction_iiiNS_24const_host_device_scalarIT1_EEPKiS6_PKS3_S4_S6_S6_S8_S6_PiPS3_21rocsparse_index_base_SB_SB_b.num_named_barrier, 0
	.set _ZN9rocsparseL39bsrgeam_block_per_row_multipass_kernel2ILj256ELj16EdEEv20rocsparse_direction_iiiNS_24const_host_device_scalarIT1_EEPKiS6_PKS3_S4_S6_S6_S8_S6_PiPS3_21rocsparse_index_base_SB_SB_b.private_seg_size, 0
	.set _ZN9rocsparseL39bsrgeam_block_per_row_multipass_kernel2ILj256ELj16EdEEv20rocsparse_direction_iiiNS_24const_host_device_scalarIT1_EEPKiS6_PKS3_S4_S6_S6_S8_S6_PiPS3_21rocsparse_index_base_SB_SB_b.uses_vcc, 1
	.set _ZN9rocsparseL39bsrgeam_block_per_row_multipass_kernel2ILj256ELj16EdEEv20rocsparse_direction_iiiNS_24const_host_device_scalarIT1_EEPKiS6_PKS3_S4_S6_S6_S8_S6_PiPS3_21rocsparse_index_base_SB_SB_b.uses_flat_scratch, 0
	.set _ZN9rocsparseL39bsrgeam_block_per_row_multipass_kernel2ILj256ELj16EdEEv20rocsparse_direction_iiiNS_24const_host_device_scalarIT1_EEPKiS6_PKS3_S4_S6_S6_S8_S6_PiPS3_21rocsparse_index_base_SB_SB_b.has_dyn_sized_stack, 0
	.set _ZN9rocsparseL39bsrgeam_block_per_row_multipass_kernel2ILj256ELj16EdEEv20rocsparse_direction_iiiNS_24const_host_device_scalarIT1_EEPKiS6_PKS3_S4_S6_S6_S8_S6_PiPS3_21rocsparse_index_base_SB_SB_b.has_recursion, 0
	.set _ZN9rocsparseL39bsrgeam_block_per_row_multipass_kernel2ILj256ELj16EdEEv20rocsparse_direction_iiiNS_24const_host_device_scalarIT1_EEPKiS6_PKS3_S4_S6_S6_S8_S6_PiPS3_21rocsparse_index_base_SB_SB_b.has_indirect_call, 0
	.section	.AMDGPU.csdata,"",@progbits
; Kernel info:
; codeLenInByte = 1292
; TotalNumSgprs: 46
; NumVgprs: 22
; NumAgprs: 0
; TotalNumVgprs: 22
; ScratchSize: 0
; MemoryBound: 0
; FloatMode: 240
; IeeeMode: 1
; LDSByteSize: 2056 bytes/workgroup (compile time only)
; SGPRBlocks: 5
; VGPRBlocks: 2
; NumSGPRsForWavesPerEU: 46
; NumVGPRsForWavesPerEU: 22
; AccumOffset: 24
; Occupancy: 8
; WaveLimiterHint : 1
; COMPUTE_PGM_RSRC2:SCRATCH_EN: 0
; COMPUTE_PGM_RSRC2:USER_SGPR: 2
; COMPUTE_PGM_RSRC2:TRAP_HANDLER: 0
; COMPUTE_PGM_RSRC2:TGID_X_EN: 1
; COMPUTE_PGM_RSRC2:TGID_Y_EN: 0
; COMPUTE_PGM_RSRC2:TGID_Z_EN: 0
; COMPUTE_PGM_RSRC2:TIDIG_COMP_CNT: 0
; COMPUTE_PGM_RSRC3_GFX90A:ACCUM_OFFSET: 5
; COMPUTE_PGM_RSRC3_GFX90A:TG_SPLIT: 0
	.section	.text._ZN9rocsparseL39bsrgeam_block_per_row_multipass_kernel2ILj256ELj32EdEEv20rocsparse_direction_iiiNS_24const_host_device_scalarIT1_EEPKiS6_PKS3_S4_S6_S6_S8_S6_PiPS3_21rocsparse_index_base_SB_SB_b,"axG",@progbits,_ZN9rocsparseL39bsrgeam_block_per_row_multipass_kernel2ILj256ELj32EdEEv20rocsparse_direction_iiiNS_24const_host_device_scalarIT1_EEPKiS6_PKS3_S4_S6_S6_S8_S6_PiPS3_21rocsparse_index_base_SB_SB_b,comdat
	.globl	_ZN9rocsparseL39bsrgeam_block_per_row_multipass_kernel2ILj256ELj32EdEEv20rocsparse_direction_iiiNS_24const_host_device_scalarIT1_EEPKiS6_PKS3_S4_S6_S6_S8_S6_PiPS3_21rocsparse_index_base_SB_SB_b ; -- Begin function _ZN9rocsparseL39bsrgeam_block_per_row_multipass_kernel2ILj256ELj32EdEEv20rocsparse_direction_iiiNS_24const_host_device_scalarIT1_EEPKiS6_PKS3_S4_S6_S6_S8_S6_PiPS3_21rocsparse_index_base_SB_SB_b
	.p2align	8
	.type	_ZN9rocsparseL39bsrgeam_block_per_row_multipass_kernel2ILj256ELj32EdEEv20rocsparse_direction_iiiNS_24const_host_device_scalarIT1_EEPKiS6_PKS3_S4_S6_S6_S8_S6_PiPS3_21rocsparse_index_base_SB_SB_b,@function
_ZN9rocsparseL39bsrgeam_block_per_row_multipass_kernel2ILj256ELj32EdEEv20rocsparse_direction_iiiNS_24const_host_device_scalarIT1_EEPKiS6_PKS3_S4_S6_S6_S8_S6_PiPS3_21rocsparse_index_base_SB_SB_b: ; @_ZN9rocsparseL39bsrgeam_block_per_row_multipass_kernel2ILj256ELj32EdEEv20rocsparse_direction_iiiNS_24const_host_device_scalarIT1_EEPKiS6_PKS3_S4_S6_S6_S8_S6_PiPS3_21rocsparse_index_base_SB_SB_b
; %bb.0:
	s_load_dwordx4 s[4:7], s[0:1], 0x68
	s_load_dwordx2 s[18:19], s[0:1], 0x50
	s_load_dwordx4 s[12:15], s[0:1], 0x10
	s_load_dwordx4 s[8:11], s[0:1], 0x30
	s_waitcnt lgkmcnt(0)
	s_bitcmp1_b32 s7, 0
	s_cselect_b64 s[20:21], -1, 0
	s_xor_b64 s[16:17], s[20:21], -1
	s_and_b64 vcc, exec, s[20:21]
	v_mov_b64_e32 v[2:3], s[12:13]
	s_cbranch_vccnz .LBB15_2
; %bb.1:
	v_mov_b64_e32 v[2:3], s[12:13]
	flat_load_dwordx2 v[2:3], v[2:3]
.LBB15_2:
	s_load_dwordx2 s[12:13], s[0:1], 0x20
	s_andn2_b64 vcc, exec, s[16:17]
	v_mov_b64_e32 v[4:5], s[8:9]
	s_cbranch_vccnz .LBB15_4
; %bb.3:
	v_mov_b64_e32 v[4:5], s[8:9]
	flat_load_dwordx2 v[4:5], v[4:5]
.LBB15_4:
	s_ashr_i32 s3, s2, 31
	s_lshl_b64 s[8:9], s[2:3], 2
	s_add_u32 s16, s14, s8
	s_addc_u32 s17, s15, s9
	s_load_dwordx2 s[24:25], s[16:17], 0x0
	s_load_dwordx2 s[2:3], s[0:1], 0x40
	;; [unrolled: 1-line block ×3, first 2 shown]
	s_waitcnt lgkmcnt(0)
	s_sub_i32 s16, s24, s4
	s_add_u32 s10, s10, s8
	s_addc_u32 s11, s11, s9
	s_load_dwordx2 s[26:27], s[10:11], 0x0
	s_add_u32 s22, s18, s8
	s_addc_u32 s23, s19, s9
	s_cmp_ge_i32 s24, s25
	s_mov_b32 s17, s14
	s_cbranch_scc1 .LBB15_6
; %bb.5:
	s_ashr_i32 s17, s16, 31
	s_lshl_b64 s[8:9], s[16:17], 2
	s_add_u32 s8, s12, s8
	s_addc_u32 s9, s13, s9
	s_load_dword s7, s[8:9], 0x0
	s_waitcnt lgkmcnt(0)
	s_sub_i32 s17, s7, s4
.LBB15_6:
	s_load_dwordx4 s[8:11], s[0:1], 0x58
	s_load_dwordx2 s[18:19], s[0:1], 0x28
	s_load_dwordx2 s[20:21], s[0:1], 0x48
	s_load_dword s24, s[22:23], 0x0
	s_waitcnt lgkmcnt(0)
	s_sub_i32 s22, s26, s5
	s_cmp_ge_i32 s26, s27
	s_mov_b32 s23, s14
	s_cbranch_scc1 .LBB15_8
; %bb.7:
	s_ashr_i32 s23, s22, 31
	s_lshl_b64 s[28:29], s[22:23], 2
	s_add_u32 s28, s2, s28
	s_addc_u32 s29, s3, s29
	s_load_dword s7, s[28:29], 0x0
	s_waitcnt lgkmcnt(0)
	s_sub_i32 s23, s7, s5
.LBB15_8:
	s_load_dword s0, s[0:1], 0x0
	v_and_b32_e32 v6, 7, v0
	v_lshrrev_b32_e32 v0, 3, v0
	s_sub_i32 s7, s25, s4
	s_sub_i32 s33, s27, s5
	;; [unrolled: 1-line block ×3, first 2 shown]
	s_min_i32 s25, s23, s17
	v_lshlrev_b32_e32 v7, 8, v0
	s_movk_i32 s1, 0xff08
	v_cmp_gt_i32_e32 vcc, s15, v0
	v_mad_i32_i24 v8, v0, s1, v7
	s_waitcnt lgkmcnt(0)
	s_cmp_lg_u32 s0, 0
	v_cmp_gt_u32_e64 s[0:1], s15, v6
	v_or_b32_e32 v25, 8, v6
	s_cselect_b64 s[26:27], -1, 0
	s_and_b64 s[28:29], vcc, s[0:1]
	v_cmp_gt_u32_e64 s[0:1], s15, v25
	v_or_b32_e32 v27, 16, v6
	s_mov_b32 s38, 0
	s_and_b64 s[30:31], vcc, s[0:1]
	v_cmp_gt_u32_e64 s[0:1], s15, v27
	v_or_b32_e32 v29, 24, v6
	v_lshl_or_b32 v1, v6, 3, v7
	v_lshl_add_u32 v24, v6, 8, v8
	v_lshl_add_u32 v26, v25, 8, v8
	s_and_b64 s[34:35], vcc, s[0:1]
	v_lshl_add_u32 v28, v27, 8, v8
	v_cmp_gt_u32_e64 s[0:1], s15, v29
	v_lshl_add_u32 v30, v29, 8, v8
	s_mov_b32 s39, s38
	v_cndmask_b32_e64 v8, 0, 1, s[26:27]
	v_or_b32_e32 v7, 64, v1
	v_or_b32_e32 v22, 0x80, v1
	;; [unrolled: 1-line block ×3, first 2 shown]
	s_and_b64 s[36:37], vcc, s[0:1]
	s_mul_i32 s46, s15, s15
	v_mov_b32_e32 v9, 0
	v_mov_b64_e32 v[10:11], s[38:39]
	v_mov_b32_e32 v31, 1
	v_cmp_ne_u32_e64 s[0:1], 1, v8
	s_branch .LBB15_12
.LBB15_9:                               ;   in Loop: Header=BB15_12 Depth=1
	ds_read_b64 v[12:13], v13
	v_lshl_add_u64 v[14:15], v[8:9], 3, s[10:11]
	s_waitcnt lgkmcnt(0)
	global_store_dwordx2 v[14:15], v[12:13], off
.LBB15_10:                              ;   in Loop: Header=BB15_12 Depth=1
	s_or_b64 exec, exec, s[38:39]
.LBB15_11:                              ;   in Loop: Header=BB15_12 Depth=1
	s_barrier
	ds_read_b32 v8, v9 offset:8192
	s_mov_b32 s25, s23
	s_waitcnt lgkmcnt(0)
	s_barrier
	v_readfirstlane_b32 s17, v8
	s_add_i32 s24, s17, s24
	s_cmp_lt_i32 s23, s14
	s_cbranch_scc0 .LBB15_98
.LBB15_12:                              ; =>This Loop Header: Depth=1
                                        ;     Child Loop BB15_14 Depth 2
                                        ;     Child Loop BB15_45 Depth 2
	s_cmp_ge_i32 s16, s7
	ds_write_b32 v9, v9 offset:8192
	ds_write2_b64 v1, v[10:11], v[10:11] offset1:8
	ds_write2_b64 v1, v[10:11], v[10:11] offset0:16 offset1:24
	s_waitcnt lgkmcnt(0)
	s_barrier
	s_cbranch_scc1 .LBB15_42
; %bb.13:                               ;   in Loop: Header=BB15_12 Depth=1
	s_mul_i32 s17, s15, s16
	v_add_u32_e32 v8, s17, v6
	v_mad_u64_u32 v[12:13], s[38:39], s15, v8, v[0:1]
	v_add_u32_e32 v8, s17, v25
	v_mad_u64_u32 v[14:15], s[38:39], s15, v8, v[0:1]
	;; [unrolled: 2-line block ×5, first 2 shown]
	s_ashr_i32 s17, s16, 31
	s_lshl_b64 s[38:39], s[16:17], 2
	s_add_u32 s38, s12, s38
	s_addc_u32 s39, s13, s39
	s_mov_b32 s23, 0
	s_mov_b32 s47, s14
.LBB15_14:                              ;   Parent Loop BB15_12 Depth=1
                                        ; =>  This Inner Loop Header: Depth=2
	s_load_dword s17, s[38:39], 0x0
	s_mov_b64 s[42:43], -1
	s_waitcnt lgkmcnt(0)
	s_sub_i32 s44, s17, s4
	s_cmp_eq_u32 s44, s25
	s_cselect_b64 s[40:41], -1, 0
	s_cmp_lg_u32 s44, s25
                                        ; implicit-def: $sgpr17
	s_cbranch_scc1 .LBB15_18
; %bb.15:                               ;   in Loop: Header=BB15_14 Depth=2
	s_andn2_b64 vcc, exec, s[42:43]
	s_cbranch_vccz .LBB15_19
.LBB15_16:                              ;   in Loop: Header=BB15_14 Depth=2
	s_andn2_b64 vcc, exec, s[40:41]
	s_mov_b64 s[40:41], -1
	s_cbranch_vccnz .LBB15_36
.LBB15_17:                              ;   in Loop: Header=BB15_14 Depth=2
	s_add_i32 s16, s16, 1
	s_add_i32 s23, s23, s46
	s_add_u32 s38, s38, 4
	s_addc_u32 s39, s39, 0
	s_cmp_ge_i32 s16, s7
	s_cselect_b64 s[40:41], -1, 0
	s_andn2_b64 vcc, exec, s[40:41]
	s_cbranch_vccnz .LBB15_37
	s_branch .LBB15_43
.LBB15_18:                              ;   in Loop: Header=BB15_14 Depth=2
	s_min_i32 s17, s44, s47
	s_cbranch_execnz .LBB15_16
.LBB15_19:                              ;   in Loop: Header=BB15_14 Depth=2
	ds_write_b32 v9, v31 offset:8192
	s_and_saveexec_b64 s[42:43], s[28:29]
	s_cbranch_execz .LBB15_23
; %bb.20:                               ;   in Loop: Header=BB15_14 Depth=2
	s_and_b64 vcc, exec, s[26:27]
	s_cbranch_vccz .LBB15_38
; %bb.21:                               ;   in Loop: Header=BB15_14 Depth=2
	v_add_u32_e32 v8, s23, v12
	v_lshl_add_u64 v[32:33], v[8:9], 3, s[18:19]
	global_load_dwordx2 v[32:33], v[32:33], off
	s_waitcnt vmcnt(0)
	v_mul_f64 v[32:33], v[2:3], v[32:33]
	ds_write_b64 v24, v[32:33]
	s_cbranch_execnz .LBB15_23
.LBB15_22:                              ;   in Loop: Header=BB15_14 Depth=2
	v_add_u32_e32 v8, s23, v20
	v_lshl_add_u64 v[32:33], v[8:9], 3, s[18:19]
	global_load_dwordx2 v[32:33], v[32:33], off
	s_waitcnt vmcnt(0)
	v_mul_f64 v[32:33], v[2:3], v[32:33]
	ds_write_b64 v1, v[32:33]
.LBB15_23:                              ;   in Loop: Header=BB15_14 Depth=2
	s_or_b64 exec, exec, s[42:43]
	s_and_saveexec_b64 s[42:43], s[30:31]
	s_cbranch_execz .LBB15_27
; %bb.24:                               ;   in Loop: Header=BB15_14 Depth=2
	s_and_b64 vcc, exec, s[0:1]
	s_cbranch_vccnz .LBB15_39
; %bb.25:                               ;   in Loop: Header=BB15_14 Depth=2
	v_add_u32_e32 v8, s23, v14
	v_lshl_add_u64 v[32:33], v[8:9], 3, s[18:19]
	global_load_dwordx2 v[32:33], v[32:33], off
	s_waitcnt vmcnt(0)
	v_mul_f64 v[32:33], v[2:3], v[32:33]
	ds_write_b64 v26, v[32:33]
	s_cbranch_execnz .LBB15_27
.LBB15_26:                              ;   in Loop: Header=BB15_14 Depth=2
	v_add3_u32 v8, v20, s23, 8
	v_lshl_add_u64 v[32:33], v[8:9], 3, s[18:19]
	global_load_dwordx2 v[32:33], v[32:33], off
	s_waitcnt vmcnt(0)
	v_mul_f64 v[32:33], v[2:3], v[32:33]
	ds_write_b64 v7, v[32:33]
.LBB15_27:                              ;   in Loop: Header=BB15_14 Depth=2
	s_or_b64 exec, exec, s[42:43]
	s_and_saveexec_b64 s[42:43], s[34:35]
	s_cbranch_execz .LBB15_31
; %bb.28:                               ;   in Loop: Header=BB15_14 Depth=2
	s_and_b64 vcc, exec, s[0:1]
	s_cbranch_vccnz .LBB15_40
; %bb.29:                               ;   in Loop: Header=BB15_14 Depth=2
	v_add_u32_e32 v8, s23, v16
	v_lshl_add_u64 v[32:33], v[8:9], 3, s[18:19]
	global_load_dwordx2 v[32:33], v[32:33], off
	s_waitcnt vmcnt(0)
	v_mul_f64 v[32:33], v[2:3], v[32:33]
	ds_write_b64 v28, v[32:33]
	s_cbranch_execnz .LBB15_31
.LBB15_30:                              ;   in Loop: Header=BB15_14 Depth=2
	v_add3_u32 v8, v20, s23, 16
	v_lshl_add_u64 v[32:33], v[8:9], 3, s[18:19]
	global_load_dwordx2 v[32:33], v[32:33], off
	s_waitcnt vmcnt(0)
	v_mul_f64 v[32:33], v[2:3], v[32:33]
	ds_write_b64 v22, v[32:33]
.LBB15_31:                              ;   in Loop: Header=BB15_14 Depth=2
	s_or_b64 exec, exec, s[42:43]
	s_and_saveexec_b64 s[42:43], s[36:37]
	s_cbranch_execz .LBB15_35
; %bb.32:                               ;   in Loop: Header=BB15_14 Depth=2
	s_and_b64 vcc, exec, s[0:1]
	s_cbranch_vccnz .LBB15_41
; %bb.33:                               ;   in Loop: Header=BB15_14 Depth=2
	v_add_u32_e32 v8, s23, v18
	v_lshl_add_u64 v[32:33], v[8:9], 3, s[18:19]
	global_load_dwordx2 v[32:33], v[32:33], off
	s_waitcnt vmcnt(0)
	v_mul_f64 v[32:33], v[2:3], v[32:33]
	ds_write_b64 v30, v[32:33]
	s_cbranch_execnz .LBB15_35
.LBB15_34:                              ;   in Loop: Header=BB15_14 Depth=2
	v_add3_u32 v8, v20, s23, 24
	v_lshl_add_u64 v[32:33], v[8:9], 3, s[18:19]
	global_load_dwordx2 v[32:33], v[32:33], off
	s_waitcnt vmcnt(0)
	v_mul_f64 v[32:33], v[2:3], v[32:33]
	ds_write_b64 v23, v[32:33]
.LBB15_35:                              ;   in Loop: Header=BB15_14 Depth=2
	s_or_b64 exec, exec, s[42:43]
	s_mov_b32 s17, s47
	s_andn2_b64 vcc, exec, s[40:41]
	s_mov_b64 s[40:41], -1
	s_cbranch_vccz .LBB15_17
.LBB15_36:                              ;   in Loop: Header=BB15_14 Depth=2
                                        ; implicit-def: $sgpr23
                                        ; implicit-def: $sgpr38_sgpr39
	s_andn2_b64 vcc, exec, s[40:41]
	s_cbranch_vccz .LBB15_43
.LBB15_37:                              ;   in Loop: Header=BB15_14 Depth=2
	s_mov_b32 s47, s17
	s_branch .LBB15_14
.LBB15_38:                              ;   in Loop: Header=BB15_14 Depth=2
	s_branch .LBB15_22
.LBB15_39:                              ;   in Loop: Header=BB15_14 Depth=2
	s_branch .LBB15_26
.LBB15_40:                              ;   in Loop: Header=BB15_14 Depth=2
	s_branch .LBB15_30
.LBB15_41:                              ;   in Loop: Header=BB15_14 Depth=2
	s_branch .LBB15_34
.LBB15_42:                              ;   in Loop: Header=BB15_12 Depth=1
	s_mov_b32 s17, s14
.LBB15_43:                              ;   in Loop: Header=BB15_12 Depth=1
	s_cmp_ge_i32 s22, s33
	s_waitcnt lgkmcnt(0)
	s_barrier
	s_cbranch_scc1 .LBB15_73
; %bb.44:                               ;   in Loop: Header=BB15_12 Depth=1
	s_mul_i32 s23, s15, s22
	v_add_u32_e32 v8, s23, v6
	v_mad_u64_u32 v[12:13], s[38:39], s15, v8, v[0:1]
	v_add_u32_e32 v8, s23, v25
	v_mad_u64_u32 v[14:15], s[38:39], s15, v8, v[0:1]
	;; [unrolled: 2-line block ×5, first 2 shown]
	s_ashr_i32 s23, s22, 31
	s_lshl_b64 s[38:39], s[22:23], 2
	s_add_u32 s38, s2, s38
	s_addc_u32 s39, s3, s39
	s_mov_b32 s47, 0
.LBB15_45:                              ;   Parent Loop BB15_12 Depth=1
                                        ; =>  This Inner Loop Header: Depth=2
	s_load_dword s23, s[38:39], 0x0
	s_mov_b64 s[42:43], -1
	s_waitcnt lgkmcnt(0)
	s_sub_i32 s44, s23, s5
	s_cmp_eq_u32 s44, s25
	s_cselect_b64 s[40:41], -1, 0
	s_cmp_lg_u32 s44, s25
                                        ; implicit-def: $sgpr23
	s_cbranch_scc1 .LBB15_49
; %bb.46:                               ;   in Loop: Header=BB15_45 Depth=2
	s_andn2_b64 vcc, exec, s[42:43]
	s_cbranch_vccz .LBB15_50
.LBB15_47:                              ;   in Loop: Header=BB15_45 Depth=2
	s_andn2_b64 vcc, exec, s[40:41]
	s_mov_b64 s[40:41], -1
	s_cbranch_vccnz .LBB15_67
.LBB15_48:                              ;   in Loop: Header=BB15_45 Depth=2
	s_add_i32 s22, s22, 1
	s_add_i32 s47, s47, s46
	s_add_u32 s38, s38, 4
	s_addc_u32 s39, s39, 0
	s_cmp_ge_i32 s22, s33
	s_cselect_b64 s[40:41], -1, 0
	s_andn2_b64 vcc, exec, s[40:41]
	s_cbranch_vccnz .LBB15_68
	s_branch .LBB15_74
.LBB15_49:                              ;   in Loop: Header=BB15_45 Depth=2
	s_min_i32 s23, s44, s17
	s_cbranch_execnz .LBB15_47
.LBB15_50:                              ;   in Loop: Header=BB15_45 Depth=2
	ds_write_b32 v9, v31 offset:8192
	s_and_saveexec_b64 s[42:43], s[28:29]
	s_cbranch_execz .LBB15_54
; %bb.51:                               ;   in Loop: Header=BB15_45 Depth=2
	s_and_b64 vcc, exec, s[26:27]
	s_cbranch_vccz .LBB15_69
; %bb.52:                               ;   in Loop: Header=BB15_45 Depth=2
	v_add_u32_e32 v8, s47, v12
	v_lshl_add_u64 v[32:33], v[8:9], 3, s[20:21]
	global_load_dwordx2 v[32:33], v[32:33], off
	ds_read_b64 v[34:35], v24
	s_waitcnt vmcnt(0) lgkmcnt(0)
	v_fmac_f64_e32 v[34:35], v[4:5], v[32:33]
	ds_write_b64 v24, v[34:35]
	s_cbranch_execnz .LBB15_54
.LBB15_53:                              ;   in Loop: Header=BB15_45 Depth=2
	v_add_u32_e32 v8, s47, v20
	v_lshl_add_u64 v[32:33], v[8:9], 3, s[20:21]
	global_load_dwordx2 v[32:33], v[32:33], off
	ds_read_b64 v[34:35], v1
	s_waitcnt vmcnt(0) lgkmcnt(0)
	v_fmac_f64_e32 v[34:35], v[4:5], v[32:33]
	ds_write_b64 v1, v[34:35]
.LBB15_54:                              ;   in Loop: Header=BB15_45 Depth=2
	s_or_b64 exec, exec, s[42:43]
	s_and_saveexec_b64 s[42:43], s[30:31]
	s_cbranch_execz .LBB15_58
; %bb.55:                               ;   in Loop: Header=BB15_45 Depth=2
	s_and_b64 vcc, exec, s[0:1]
	s_cbranch_vccnz .LBB15_70
; %bb.56:                               ;   in Loop: Header=BB15_45 Depth=2
	v_add_u32_e32 v8, s47, v14
	v_lshl_add_u64 v[32:33], v[8:9], 3, s[20:21]
	global_load_dwordx2 v[32:33], v[32:33], off
	ds_read_b64 v[34:35], v26
	s_waitcnt vmcnt(0) lgkmcnt(0)
	v_fmac_f64_e32 v[34:35], v[4:5], v[32:33]
	ds_write_b64 v26, v[34:35]
	s_cbranch_execnz .LBB15_58
.LBB15_57:                              ;   in Loop: Header=BB15_45 Depth=2
	v_add3_u32 v8, v20, s47, 8
	v_lshl_add_u64 v[32:33], v[8:9], 3, s[20:21]
	global_load_dwordx2 v[32:33], v[32:33], off
	ds_read_b64 v[34:35], v7
	s_waitcnt vmcnt(0) lgkmcnt(0)
	v_fmac_f64_e32 v[34:35], v[4:5], v[32:33]
	ds_write_b64 v7, v[34:35]
.LBB15_58:                              ;   in Loop: Header=BB15_45 Depth=2
	s_or_b64 exec, exec, s[42:43]
	s_and_saveexec_b64 s[42:43], s[34:35]
	s_cbranch_execz .LBB15_62
; %bb.59:                               ;   in Loop: Header=BB15_45 Depth=2
	s_and_b64 vcc, exec, s[0:1]
	s_cbranch_vccnz .LBB15_71
; %bb.60:                               ;   in Loop: Header=BB15_45 Depth=2
	v_add_u32_e32 v8, s47, v16
	v_lshl_add_u64 v[32:33], v[8:9], 3, s[20:21]
	global_load_dwordx2 v[32:33], v[32:33], off
	ds_read_b64 v[34:35], v28
	s_waitcnt vmcnt(0) lgkmcnt(0)
	v_fmac_f64_e32 v[34:35], v[4:5], v[32:33]
	ds_write_b64 v28, v[34:35]
	s_cbranch_execnz .LBB15_62
.LBB15_61:                              ;   in Loop: Header=BB15_45 Depth=2
	v_add3_u32 v8, v20, s47, 16
	v_lshl_add_u64 v[32:33], v[8:9], 3, s[20:21]
	global_load_dwordx2 v[32:33], v[32:33], off
	ds_read_b64 v[34:35], v22
	s_waitcnt vmcnt(0) lgkmcnt(0)
	v_fmac_f64_e32 v[34:35], v[4:5], v[32:33]
	ds_write_b64 v22, v[34:35]
.LBB15_62:                              ;   in Loop: Header=BB15_45 Depth=2
	s_or_b64 exec, exec, s[42:43]
	s_and_saveexec_b64 s[42:43], s[36:37]
	s_cbranch_execz .LBB15_66
; %bb.63:                               ;   in Loop: Header=BB15_45 Depth=2
	s_and_b64 vcc, exec, s[0:1]
	s_cbranch_vccnz .LBB15_72
; %bb.64:                               ;   in Loop: Header=BB15_45 Depth=2
	v_add_u32_e32 v8, s47, v18
	v_lshl_add_u64 v[32:33], v[8:9], 3, s[20:21]
	global_load_dwordx2 v[32:33], v[32:33], off
	ds_read_b64 v[34:35], v30
	s_waitcnt vmcnt(0) lgkmcnt(0)
	v_fmac_f64_e32 v[34:35], v[4:5], v[32:33]
	ds_write_b64 v30, v[34:35]
	s_cbranch_execnz .LBB15_66
.LBB15_65:                              ;   in Loop: Header=BB15_45 Depth=2
	v_add3_u32 v8, v20, s47, 24
	v_lshl_add_u64 v[32:33], v[8:9], 3, s[20:21]
	global_load_dwordx2 v[32:33], v[32:33], off
	ds_read_b64 v[34:35], v23
	s_waitcnt vmcnt(0) lgkmcnt(0)
	v_fmac_f64_e32 v[34:35], v[4:5], v[32:33]
	ds_write_b64 v23, v[34:35]
.LBB15_66:                              ;   in Loop: Header=BB15_45 Depth=2
	s_or_b64 exec, exec, s[42:43]
	s_mov_b32 s23, s17
	s_andn2_b64 vcc, exec, s[40:41]
	s_mov_b64 s[40:41], -1
	s_cbranch_vccz .LBB15_48
.LBB15_67:                              ;   in Loop: Header=BB15_45 Depth=2
                                        ; implicit-def: $sgpr47
                                        ; implicit-def: $sgpr38_sgpr39
	s_andn2_b64 vcc, exec, s[40:41]
	s_cbranch_vccz .LBB15_74
.LBB15_68:                              ;   in Loop: Header=BB15_45 Depth=2
	s_mov_b32 s17, s23
	s_branch .LBB15_45
.LBB15_69:                              ;   in Loop: Header=BB15_45 Depth=2
	s_branch .LBB15_53
.LBB15_70:                              ;   in Loop: Header=BB15_45 Depth=2
	s_branch .LBB15_57
.LBB15_71:                              ;   in Loop: Header=BB15_45 Depth=2
	s_branch .LBB15_61
.LBB15_72:                              ;   in Loop: Header=BB15_45 Depth=2
	s_branch .LBB15_65
.LBB15_73:                              ;   in Loop: Header=BB15_12 Depth=1
	s_mov_b32 s23, s17
.LBB15_74:                              ;   in Loop: Header=BB15_12 Depth=1
	s_waitcnt lgkmcnt(0)
	s_barrier
	ds_read_b32 v8, v9 offset:8192
	s_waitcnt lgkmcnt(0)
	v_cmp_eq_u32_e32 vcc, 0, v8
	s_cbranch_vccnz .LBB15_11
; %bb.75:                               ;   in Loop: Header=BB15_12 Depth=1
	s_add_i32 s17, s25, s6
	s_ashr_i32 s25, s24, 31
	s_lshl_b64 s[38:39], s[24:25], 2
	s_add_u32 s38, s8, s38
	s_addc_u32 s39, s9, s39
	v_mov_b32_e32 v8, s17
	s_mul_i32 s17, s24, s15
	global_store_dword v9, v8, s[38:39]
	v_add_u32_e32 v8, s17, v0
	v_mul_lo_u32 v12, v8, s15
	s_and_saveexec_b64 s[38:39], s[28:29]
	s_cbranch_execnz .LBB15_79
; %bb.76:                               ;   in Loop: Header=BB15_12 Depth=1
	s_or_b64 exec, exec, s[38:39]
	s_and_saveexec_b64 s[38:39], s[30:31]
	s_cbranch_execnz .LBB15_83
.LBB15_77:                              ;   in Loop: Header=BB15_12 Depth=1
	s_or_b64 exec, exec, s[38:39]
	s_and_saveexec_b64 s[38:39], s[34:35]
	s_cbranch_execnz .LBB15_87
.LBB15_78:                              ;   in Loop: Header=BB15_12 Depth=1
	s_or_b64 exec, exec, s[38:39]
	s_and_saveexec_b64 s[38:39], s[36:37]
	s_cbranch_execz .LBB15_10
	s_branch .LBB15_91
.LBB15_79:                              ;   in Loop: Header=BB15_12 Depth=1
	s_and_b64 vcc, exec, s[26:27]
	s_cbranch_vccz .LBB15_93
; %bb.80:                               ;   in Loop: Header=BB15_12 Depth=1
	v_add_u32_e32 v8, s17, v6
	v_mad_u64_u32 v[14:15], s[40:41], v8, s15, v[0:1]
	v_mov_b32_e32 v8, v14
	v_mov_b32_e32 v13, v24
	s_cbranch_execnz .LBB15_82
.LBB15_81:                              ;   in Loop: Header=BB15_12 Depth=1
	v_add_u32_e32 v8, v12, v6
	v_mov_b32_e32 v13, v1
.LBB15_82:                              ;   in Loop: Header=BB15_12 Depth=1
	ds_read_b64 v[14:15], v13
	v_lshl_add_u64 v[16:17], v[8:9], 3, s[10:11]
	s_waitcnt lgkmcnt(0)
	global_store_dwordx2 v[16:17], v[14:15], off
	s_or_b64 exec, exec, s[38:39]
	s_and_saveexec_b64 s[38:39], s[30:31]
	s_cbranch_execz .LBB15_77
.LBB15_83:                              ;   in Loop: Header=BB15_12 Depth=1
	s_and_b64 vcc, exec, s[0:1]
	s_cbranch_vccnz .LBB15_94
; %bb.84:                               ;   in Loop: Header=BB15_12 Depth=1
	v_add_u32_e32 v8, s17, v25
	v_mad_u64_u32 v[14:15], s[40:41], v8, s15, v[0:1]
	v_mov_b32_e32 v8, v14
	v_mov_b32_e32 v13, v26
	s_cbranch_execnz .LBB15_86
.LBB15_85:                              ;   in Loop: Header=BB15_12 Depth=1
	v_add_u32_e32 v8, v12, v25
	v_mov_b32_e32 v13, v7
.LBB15_86:                              ;   in Loop: Header=BB15_12 Depth=1
	ds_read_b64 v[14:15], v13
	v_lshl_add_u64 v[16:17], v[8:9], 3, s[10:11]
	s_waitcnt lgkmcnt(0)
	global_store_dwordx2 v[16:17], v[14:15], off
	s_or_b64 exec, exec, s[38:39]
	s_and_saveexec_b64 s[38:39], s[34:35]
	s_cbranch_execz .LBB15_78
.LBB15_87:                              ;   in Loop: Header=BB15_12 Depth=1
	s_and_b64 vcc, exec, s[0:1]
	s_cbranch_vccnz .LBB15_95
; %bb.88:                               ;   in Loop: Header=BB15_12 Depth=1
	v_add_u32_e32 v8, s17, v27
	v_mad_u64_u32 v[14:15], s[40:41], v8, s15, v[0:1]
	v_mov_b32_e32 v8, v14
	v_mov_b32_e32 v13, v28
	s_cbranch_execnz .LBB15_90
.LBB15_89:                              ;   in Loop: Header=BB15_12 Depth=1
	v_add_u32_e32 v8, v12, v27
	v_mov_b32_e32 v13, v22
.LBB15_90:                              ;   in Loop: Header=BB15_12 Depth=1
	ds_read_b64 v[14:15], v13
	v_lshl_add_u64 v[16:17], v[8:9], 3, s[10:11]
	s_waitcnt lgkmcnt(0)
	global_store_dwordx2 v[16:17], v[14:15], off
	s_or_b64 exec, exec, s[38:39]
	s_and_saveexec_b64 s[38:39], s[36:37]
	s_cbranch_execz .LBB15_10
.LBB15_91:                              ;   in Loop: Header=BB15_12 Depth=1
	s_and_b64 vcc, exec, s[0:1]
	s_cbranch_vccnz .LBB15_96
; %bb.92:                               ;   in Loop: Header=BB15_12 Depth=1
	v_add_u32_e32 v8, s17, v29
	v_mad_u64_u32 v[14:15], s[40:41], v8, s15, v[0:1]
	v_mov_b32_e32 v8, v14
	v_mov_b32_e32 v13, v30
	s_cbranch_execnz .LBB15_9
	s_branch .LBB15_97
.LBB15_93:                              ;   in Loop: Header=BB15_12 Depth=1
	v_mov_b32_e32 v13, v24
	s_branch .LBB15_81
.LBB15_94:                              ;   in Loop: Header=BB15_12 Depth=1
	v_mov_b32_e32 v13, v26
	s_branch .LBB15_85
.LBB15_95:                              ;   in Loop: Header=BB15_12 Depth=1
	v_mov_b32_e32 v13, v28
	s_branch .LBB15_89
.LBB15_96:                              ;   in Loop: Header=BB15_12 Depth=1
	v_mov_b32_e32 v13, v30
.LBB15_97:                              ;   in Loop: Header=BB15_12 Depth=1
	v_add_u32_e32 v8, v12, v29
	v_mov_b32_e32 v13, v23
	s_branch .LBB15_9
.LBB15_98:
	s_endpgm
	.section	.rodata,"a",@progbits
	.p2align	6, 0x0
	.amdhsa_kernel _ZN9rocsparseL39bsrgeam_block_per_row_multipass_kernel2ILj256ELj32EdEEv20rocsparse_direction_iiiNS_24const_host_device_scalarIT1_EEPKiS6_PKS3_S4_S6_S6_S8_S6_PiPS3_21rocsparse_index_base_SB_SB_b
		.amdhsa_group_segment_fixed_size 8200
		.amdhsa_private_segment_fixed_size 0
		.amdhsa_kernarg_size 120
		.amdhsa_user_sgpr_count 2
		.amdhsa_user_sgpr_dispatch_ptr 0
		.amdhsa_user_sgpr_queue_ptr 0
		.amdhsa_user_sgpr_kernarg_segment_ptr 1
		.amdhsa_user_sgpr_dispatch_id 0
		.amdhsa_user_sgpr_kernarg_preload_length 0
		.amdhsa_user_sgpr_kernarg_preload_offset 0
		.amdhsa_user_sgpr_private_segment_size 0
		.amdhsa_uses_dynamic_stack 0
		.amdhsa_enable_private_segment 0
		.amdhsa_system_sgpr_workgroup_id_x 1
		.amdhsa_system_sgpr_workgroup_id_y 0
		.amdhsa_system_sgpr_workgroup_id_z 0
		.amdhsa_system_sgpr_workgroup_info 0
		.amdhsa_system_vgpr_workitem_id 0
		.amdhsa_next_free_vgpr 36
		.amdhsa_next_free_sgpr 48
		.amdhsa_accum_offset 36
		.amdhsa_reserve_vcc 1
		.amdhsa_float_round_mode_32 0
		.amdhsa_float_round_mode_16_64 0
		.amdhsa_float_denorm_mode_32 3
		.amdhsa_float_denorm_mode_16_64 3
		.amdhsa_dx10_clamp 1
		.amdhsa_ieee_mode 1
		.amdhsa_fp16_overflow 0
		.amdhsa_tg_split 0
		.amdhsa_exception_fp_ieee_invalid_op 0
		.amdhsa_exception_fp_denorm_src 0
		.amdhsa_exception_fp_ieee_div_zero 0
		.amdhsa_exception_fp_ieee_overflow 0
		.amdhsa_exception_fp_ieee_underflow 0
		.amdhsa_exception_fp_ieee_inexact 0
		.amdhsa_exception_int_div_zero 0
	.end_amdhsa_kernel
	.section	.text._ZN9rocsparseL39bsrgeam_block_per_row_multipass_kernel2ILj256ELj32EdEEv20rocsparse_direction_iiiNS_24const_host_device_scalarIT1_EEPKiS6_PKS3_S4_S6_S6_S8_S6_PiPS3_21rocsparse_index_base_SB_SB_b,"axG",@progbits,_ZN9rocsparseL39bsrgeam_block_per_row_multipass_kernel2ILj256ELj32EdEEv20rocsparse_direction_iiiNS_24const_host_device_scalarIT1_EEPKiS6_PKS3_S4_S6_S6_S8_S6_PiPS3_21rocsparse_index_base_SB_SB_b,comdat
.Lfunc_end15:
	.size	_ZN9rocsparseL39bsrgeam_block_per_row_multipass_kernel2ILj256ELj32EdEEv20rocsparse_direction_iiiNS_24const_host_device_scalarIT1_EEPKiS6_PKS3_S4_S6_S6_S8_S6_PiPS3_21rocsparse_index_base_SB_SB_b, .Lfunc_end15-_ZN9rocsparseL39bsrgeam_block_per_row_multipass_kernel2ILj256ELj32EdEEv20rocsparse_direction_iiiNS_24const_host_device_scalarIT1_EEPKiS6_PKS3_S4_S6_S6_S8_S6_PiPS3_21rocsparse_index_base_SB_SB_b
                                        ; -- End function
	.set _ZN9rocsparseL39bsrgeam_block_per_row_multipass_kernel2ILj256ELj32EdEEv20rocsparse_direction_iiiNS_24const_host_device_scalarIT1_EEPKiS6_PKS3_S4_S6_S6_S8_S6_PiPS3_21rocsparse_index_base_SB_SB_b.num_vgpr, 36
	.set _ZN9rocsparseL39bsrgeam_block_per_row_multipass_kernel2ILj256ELj32EdEEv20rocsparse_direction_iiiNS_24const_host_device_scalarIT1_EEPKiS6_PKS3_S4_S6_S6_S8_S6_PiPS3_21rocsparse_index_base_SB_SB_b.num_agpr, 0
	.set _ZN9rocsparseL39bsrgeam_block_per_row_multipass_kernel2ILj256ELj32EdEEv20rocsparse_direction_iiiNS_24const_host_device_scalarIT1_EEPKiS6_PKS3_S4_S6_S6_S8_S6_PiPS3_21rocsparse_index_base_SB_SB_b.numbered_sgpr, 48
	.set _ZN9rocsparseL39bsrgeam_block_per_row_multipass_kernel2ILj256ELj32EdEEv20rocsparse_direction_iiiNS_24const_host_device_scalarIT1_EEPKiS6_PKS3_S4_S6_S6_S8_S6_PiPS3_21rocsparse_index_base_SB_SB_b.num_named_barrier, 0
	.set _ZN9rocsparseL39bsrgeam_block_per_row_multipass_kernel2ILj256ELj32EdEEv20rocsparse_direction_iiiNS_24const_host_device_scalarIT1_EEPKiS6_PKS3_S4_S6_S6_S8_S6_PiPS3_21rocsparse_index_base_SB_SB_b.private_seg_size, 0
	.set _ZN9rocsparseL39bsrgeam_block_per_row_multipass_kernel2ILj256ELj32EdEEv20rocsparse_direction_iiiNS_24const_host_device_scalarIT1_EEPKiS6_PKS3_S4_S6_S6_S8_S6_PiPS3_21rocsparse_index_base_SB_SB_b.uses_vcc, 1
	.set _ZN9rocsparseL39bsrgeam_block_per_row_multipass_kernel2ILj256ELj32EdEEv20rocsparse_direction_iiiNS_24const_host_device_scalarIT1_EEPKiS6_PKS3_S4_S6_S6_S8_S6_PiPS3_21rocsparse_index_base_SB_SB_b.uses_flat_scratch, 0
	.set _ZN9rocsparseL39bsrgeam_block_per_row_multipass_kernel2ILj256ELj32EdEEv20rocsparse_direction_iiiNS_24const_host_device_scalarIT1_EEPKiS6_PKS3_S4_S6_S6_S8_S6_PiPS3_21rocsparse_index_base_SB_SB_b.has_dyn_sized_stack, 0
	.set _ZN9rocsparseL39bsrgeam_block_per_row_multipass_kernel2ILj256ELj32EdEEv20rocsparse_direction_iiiNS_24const_host_device_scalarIT1_EEPKiS6_PKS3_S4_S6_S6_S8_S6_PiPS3_21rocsparse_index_base_SB_SB_b.has_recursion, 0
	.set _ZN9rocsparseL39bsrgeam_block_per_row_multipass_kernel2ILj256ELj32EdEEv20rocsparse_direction_iiiNS_24const_host_device_scalarIT1_EEPKiS6_PKS3_S4_S6_S6_S8_S6_PiPS3_21rocsparse_index_base_SB_SB_b.has_indirect_call, 0
	.section	.AMDGPU.csdata,"",@progbits
; Kernel info:
; codeLenInByte = 2484
; TotalNumSgprs: 54
; NumVgprs: 36
; NumAgprs: 0
; TotalNumVgprs: 36
; ScratchSize: 0
; MemoryBound: 0
; FloatMode: 240
; IeeeMode: 1
; LDSByteSize: 8200 bytes/workgroup (compile time only)
; SGPRBlocks: 6
; VGPRBlocks: 4
; NumSGPRsForWavesPerEU: 54
; NumVGPRsForWavesPerEU: 36
; AccumOffset: 36
; Occupancy: 8
; WaveLimiterHint : 1
; COMPUTE_PGM_RSRC2:SCRATCH_EN: 0
; COMPUTE_PGM_RSRC2:USER_SGPR: 2
; COMPUTE_PGM_RSRC2:TRAP_HANDLER: 0
; COMPUTE_PGM_RSRC2:TGID_X_EN: 1
; COMPUTE_PGM_RSRC2:TGID_Y_EN: 0
; COMPUTE_PGM_RSRC2:TGID_Z_EN: 0
; COMPUTE_PGM_RSRC2:TIDIG_COMP_CNT: 0
; COMPUTE_PGM_RSRC3_GFX90A:ACCUM_OFFSET: 8
; COMPUTE_PGM_RSRC3_GFX90A:TG_SPLIT: 0
	.section	.text._ZN9rocsparseL39bsrgeam_wf_per_row_multipass_2_3_kernelILj256ELj2ELj32E21rocsparse_complex_numIfEEEv20rocsparse_direction_iiiNS_24const_host_device_scalarIT2_EEPKiS8_PKS5_S6_S8_S8_SA_S8_PiPS5_21rocsparse_index_base_SD_SD_b,"axG",@progbits,_ZN9rocsparseL39bsrgeam_wf_per_row_multipass_2_3_kernelILj256ELj2ELj32E21rocsparse_complex_numIfEEEv20rocsparse_direction_iiiNS_24const_host_device_scalarIT2_EEPKiS8_PKS5_S6_S8_S8_SA_S8_PiPS5_21rocsparse_index_base_SD_SD_b,comdat
	.globl	_ZN9rocsparseL39bsrgeam_wf_per_row_multipass_2_3_kernelILj256ELj2ELj32E21rocsparse_complex_numIfEEEv20rocsparse_direction_iiiNS_24const_host_device_scalarIT2_EEPKiS8_PKS5_S6_S8_S8_SA_S8_PiPS5_21rocsparse_index_base_SD_SD_b ; -- Begin function _ZN9rocsparseL39bsrgeam_wf_per_row_multipass_2_3_kernelILj256ELj2ELj32E21rocsparse_complex_numIfEEEv20rocsparse_direction_iiiNS_24const_host_device_scalarIT2_EEPKiS8_PKS5_S6_S8_S8_SA_S8_PiPS5_21rocsparse_index_base_SD_SD_b
	.p2align	8
	.type	_ZN9rocsparseL39bsrgeam_wf_per_row_multipass_2_3_kernelILj256ELj2ELj32E21rocsparse_complex_numIfEEEv20rocsparse_direction_iiiNS_24const_host_device_scalarIT2_EEPKiS8_PKS5_S6_S8_S8_SA_S8_PiPS5_21rocsparse_index_base_SD_SD_b,@function
_ZN9rocsparseL39bsrgeam_wf_per_row_multipass_2_3_kernelILj256ELj2ELj32E21rocsparse_complex_numIfEEEv20rocsparse_direction_iiiNS_24const_host_device_scalarIT2_EEPKiS8_PKS5_S6_S8_S8_SA_S8_PiPS5_21rocsparse_index_base_SD_SD_b: ; @_ZN9rocsparseL39bsrgeam_wf_per_row_multipass_2_3_kernelILj256ELj2ELj32E21rocsparse_complex_numIfEEEv20rocsparse_direction_iiiNS_24const_host_device_scalarIT2_EEPKiS8_PKS5_S6_S8_S8_SA_S8_PiPS5_21rocsparse_index_base_SD_SD_b
; %bb.0:
	s_load_dwordx4 s[8:11], s[0:1], 0x68
	s_load_dwordx2 s[12:13], s[0:1], 0x10
	s_load_dwordx2 s[6:7], s[0:1], 0x30
	s_waitcnt lgkmcnt(0)
	s_bitcmp1_b32 s11, 0
	s_cselect_b64 s[4:5], -1, 0
	s_xor_b64 s[14:15], s[4:5], -1
	s_and_b64 vcc, exec, s[4:5]
	s_mov_b32 s24, s12
	s_cbranch_vccnz .LBB16_2
; %bb.1:
	s_load_dword s24, s[12:13], 0x0
.LBB16_2:
	v_cndmask_b32_e64 v1, 0, 1, s[14:15]
	v_cmp_ne_u32_e64 s[4:5], 1, v1
	s_andn2_b64 vcc, exec, s[14:15]
	s_mov_b32 s25, s13
	s_cbranch_vccz .LBB16_42
; %bb.3:
	s_and_b64 vcc, exec, s[4:5]
	s_mov_b32 s26, s6
	s_cbranch_vccz .LBB16_43
.LBB16_4:
	s_and_b64 vcc, exec, s[4:5]
	s_mov_b32 s27, s7
	s_cbranch_vccnz .LBB16_6
.LBB16_5:
	s_load_dword s27, s[6:7], 0x4
.LBB16_6:
	s_nop 0
	s_load_dwordx4 s[4:7], s[0:1], 0x0
	s_lshl_b32 s2, s2, 3
	v_lshrrev_b32_e32 v1, 5, v0
	s_and_b32 s2, s2, 0x7fffff8
	v_or_b32_e32 v2, s2, v1
	s_waitcnt lgkmcnt(0)
	v_cmp_gt_i32_e32 vcc, s5, v2
	s_and_saveexec_b64 s[2:3], vcc
	s_cbranch_execz .LBB16_41
; %bb.7:
	s_load_dwordx4 s[12:15], s[0:1], 0x18
	s_load_dwordx4 s[16:19], s[0:1], 0x38
	s_load_dwordx2 s[2:3], s[0:1], 0x50
	v_lshlrev_b32_e32 v6, 2, v2
	s_waitcnt lgkmcnt(0)
	global_load_dwordx2 v[2:3], v6, s[12:13]
	global_load_dwordx2 v[4:5], v6, s[16:17]
	global_load_dword v10, v6, s[2:3]
	s_waitcnt vmcnt(2)
	v_subrev_u32_e32 v6, s8, v2
	v_cmp_lt_i32_e32 vcc, v2, v3
	v_mov_b32_e32 v2, s6
	s_and_saveexec_b64 s[2:3], vcc
	s_cbranch_execz .LBB16_9
; %bb.8:
	v_ashrrev_i32_e32 v7, 31, v6
	v_lshl_add_u64 v[8:9], v[6:7], 2, s[14:15]
	global_load_dword v2, v[8:9], off
	s_waitcnt vmcnt(0)
	v_subrev_u32_e32 v2, s8, v2
.LBB16_9:
	s_or_b64 exec, exec, s[2:3]
	s_load_dwordx4 s[20:23], s[0:1], 0x58
	s_load_dwordx2 s[12:13], s[0:1], 0x28
	s_load_dwordx2 s[16:17], s[0:1], 0x48
	s_waitcnt vmcnt(1)
	v_subrev_u32_e32 v8, s9, v4
	v_cmp_lt_i32_e32 vcc, v4, v5
	v_mov_b32_e32 v4, s6
	s_and_saveexec_b64 s[0:1], vcc
	s_cbranch_execz .LBB16_11
; %bb.10:
	v_ashrrev_i32_e32 v9, 31, v8
	v_lshl_add_u64 v[12:13], v[8:9], 2, s[18:19]
	global_load_dword v4, v[12:13], off
	s_waitcnt vmcnt(0)
	v_subrev_u32_e32 v4, s9, v4
.LBB16_11:
	s_or_b64 exec, exec, s[0:1]
	v_min_i32_e32 v26, v4, v2
	v_mbcnt_lo_u32_b32 v2, -1, 0
	v_mbcnt_hi_u32_b32 v2, -1, v2
	v_and_b32_e32 v7, 0xe0, v0
	v_lshlrev_b32_e32 v13, 10, v1
	v_subrev_u32_e32 v14, s8, v3
	v_and_b32_e32 v1, 31, v0
	v_and_b32_e32 v3, 64, v2
	v_bitop3_b32 v0, v0, 31, v0 bitop3:0xc
	v_add_u32_e32 v3, 64, v3
	v_lshrrev_b32_e64 v18, v0, -1
	v_xor_b32_e32 v0, 16, v2
	v_cmp_lt_i32_e32 vcc, v0, v3
	s_mov_b32 s0, 0
	s_cmp_lg_u32 s4, 0
	v_cndmask_b32_e32 v0, v2, v0, vcc
	v_lshlrev_b32_e32 v20, 2, v0
	v_xor_b32_e32 v0, 8, v2
	v_cmp_lt_i32_e32 vcc, v0, v3
	s_cselect_b64 s[34:35], -1, 0
	s_xor_b32 s28, s25, 0x80000000
	v_cndmask_b32_e32 v0, v2, v0, vcc
	v_lshlrev_b32_e32 v21, 2, v0
	v_xor_b32_e32 v0, 4, v2
	v_cmp_lt_i32_e32 vcc, v0, v3
	s_xor_b32 s30, s27, 0x80000000
	s_mov_b32 s2, s0
	v_cndmask_b32_e32 v0, v2, v0, vcc
	v_lshlrev_b32_e32 v22, 2, v0
	v_xor_b32_e32 v0, 2, v2
	v_cmp_lt_i32_e32 vcc, v0, v3
	s_mov_b32 s3, s0
	v_or_b32_e32 v12, 0x2000, v7
	v_cndmask_b32_e32 v0, v2, v0, vcc
	v_lshlrev_b32_e32 v23, 2, v0
	v_xor_b32_e32 v0, 1, v2
	v_cmp_lt_i32_e32 vcc, v0, v3
	s_cmp_eq_u32 s4, 0
	s_mov_b32 s1, s0
	v_cndmask_b32_e32 v0, v2, v0, vcc
	v_lshlrev_b32_e32 v24, 2, v0
	v_mov_b64_e32 v[32:33], s[2:3]
	v_cndmask_b32_e64 v0, 0, 1, s[34:35]
	v_subrev_u32_e32 v15, s9, v5
	s_waitcnt vmcnt(0)
	v_subrev_u32_e32 v16, s10, v10
	v_add_u32_e32 v4, v6, v1
	v_add_u32_e32 v6, v8, v1
	v_lshl_or_b32 v17, v1, 5, v13
	v_add_u32_e32 v19, s10, v1
	s_cselect_b32 s7, 8, 16
	s_cselect_b32 s33, 16, 8
	s_mov_b32 s29, s24
	s_mov_b32 s31, s26
	s_mov_b64 s[4:5], 0
	v_add_u32_e32 v25, v12, v1
	v_mov_b32_e32 v9, 0
	v_mov_b64_e32 v[30:31], s[0:1]
	v_mov_b32_e32 v27, 1
	v_cmp_ne_u32_e64 s[0:1], 1, v0
	s_branch .LBB16_13
.LBB16_12:                              ;   in Loop: Header=BB16_13 Depth=1
	s_or_b64 exec, exec, s[10:11]
	ds_bpermute_b32 v0, v20, v28
	s_bcnt1_i32_b64 s2, vcc
	v_add_u32_e32 v16, s2, v16
	s_waitcnt lgkmcnt(0)
	v_min_i32_e32 v0, v0, v28
	ds_bpermute_b32 v1, v21, v0
	s_waitcnt lgkmcnt(0)
	v_min_i32_e32 v0, v1, v0
	ds_bpermute_b32 v1, v22, v0
	;; [unrolled: 3-line block ×4, first 2 shown]
	s_waitcnt lgkmcnt(0)
	v_min_i32_e32 v26, v1, v0
	v_cmp_le_i32_e32 vcc, s6, v26
	s_or_b64 s[4:5], vcc, s[4:5]
	s_andn2_b64 exec, exec, s[4:5]
	s_cbranch_execz .LBB16_41
.LBB16_13:                              ; =>This Loop Header: Depth=1
                                        ;     Child Loop BB16_16 Depth 2
                                        ;     Child Loop BB16_29 Depth 2
	v_cmp_lt_i32_e32 vcc, v4, v14
	v_mov_b32_e32 v28, s6
	ds_write_b8 v25, v9
	ds_write_b128 v17, v[30:33]
	ds_write_b128 v17, v[30:33] offset:16
	s_waitcnt lgkmcnt(0)
	s_and_saveexec_b64 s[10:11], vcc
	s_cbranch_execz .LBB16_26
; %bb.14:                               ;   in Loop: Header=BB16_13 Depth=1
	v_lshlrev_b32_e32 v8, 2, v4
	s_mov_b64 s[34:35], 0
	v_mov_b32_e32 v28, s6
	s_branch .LBB16_16
.LBB16_15:                              ;   in Loop: Header=BB16_16 Depth=2
	s_or_b64 exec, exec, s[38:39]
	s_and_b64 s[2:3], exec, s[36:37]
	s_or_b64 s[34:35], s[2:3], s[34:35]
	s_andn2_b64 exec, exec, s[34:35]
	s_cbranch_execz .LBB16_25
.LBB16_16:                              ;   Parent Loop BB16_13 Depth=1
                                        ; =>  This Inner Loop Header: Depth=2
	v_ashrrev_i32_e32 v5, 31, v4
	v_lshl_add_u64 v[0:1], v[4:5], 2, s[14:15]
	global_load_dword v0, v[0:1], off
	s_waitcnt vmcnt(0)
	v_subrev_u32_e32 v0, s8, v0
	v_sub_u32_e32 v2, v0, v26
	v_cmp_gt_u32_e64 s[2:3], 32, v2
	v_cmp_lt_u32_e32 vcc, 31, v2
	s_and_saveexec_b64 s[36:37], vcc
	s_xor_b64 s[36:37], exec, s[36:37]
; %bb.17:                               ;   in Loop: Header=BB16_16 Depth=2
	v_min_i32_e32 v28, v0, v28
                                        ; implicit-def: $vgpr2
; %bb.18:                               ;   in Loop: Header=BB16_16 Depth=2
	s_andn2_saveexec_b64 s[36:37], s[36:37]
	s_cbranch_execz .LBB16_23
; %bb.19:                               ;   in Loop: Header=BB16_16 Depth=2
	v_lshl_add_u64 v[0:1], v[8:9], 3, s[12:13]
	global_load_dwordx2 v[10:11], v[0:1], off
	v_add_u32_e32 v3, v12, v2
	v_lshlrev_b32_e32 v2, 5, v2
	s_and_b64 vcc, exec, s[0:1]
	v_add_u32_e32 v2, v13, v2
	s_mov_b64 s[38:39], -1
	ds_write_b8 v3, v27
	s_waitcnt vmcnt(0)
	v_pk_mul_f32 v[34:35], v[10:11], s[28:29] op_sel:[1,0]
	s_nop 0
	v_pk_fma_f32 v[10:11], s[24:25], v[10:11], v[34:35] op_sel_hi:[1,0,1]
	ds_write_b64 v2, v[10:11]
	s_cbranch_vccnz .LBB16_21
; %bb.20:                               ;   in Loop: Header=BB16_16 Depth=2
	global_load_dwordx4 v[34:37], v[0:1], off offset:8
	global_load_dwordx2 v[10:11], v[0:1], off offset:24
	s_mov_b64 s[38:39], 0
	s_waitcnt vmcnt(1)
	v_mov_b32_e32 v38, v37
	s_waitcnt vmcnt(0)
	v_pk_mul_f32 v[42:43], v[10:11], s[28:29] op_sel:[1,0]
	v_pk_mul_f32 v[40:41], v[34:35], s[28:29] op_sel:[1,0]
	v_pk_mul_f32 v[38:39], v[38:39], s[28:29] op_sel_hi:[0,1]
	v_pk_fma_f32 v[10:11], s[24:25], v[10:11], v[42:43] op_sel_hi:[1,0,1]
	v_pk_fma_f32 v[34:35], s[24:25], v[34:35], v[40:41] op_sel_hi:[1,0,1]
	;; [unrolled: 1-line block ×3, first 2 shown]
	ds_write_b64 v2, v[10:11] offset:24
	ds_write2_b64 v2, v[36:37], v[34:35] offset0:1 offset1:2
.LBB16_21:                              ;   in Loop: Header=BB16_16 Depth=2
	s_andn2_b64 vcc, exec, s[38:39]
	s_cbranch_vccnz .LBB16_23
; %bb.22:                               ;   in Loop: Header=BB16_16 Depth=2
	global_load_dwordx4 v[34:37], v[0:1], off offset:8
	global_load_dwordx2 v[10:11], v[0:1], off offset:24
	s_waitcnt vmcnt(1)
	v_pk_mul_f32 v[0:1], v[34:35], s[28:29] op_sel:[1,0]
	v_mov_b32_e32 v38, v37
	v_pk_fma_f32 v[0:1], s[24:25], v[34:35], v[0:1] op_sel_hi:[1,0,1]
	v_pk_mul_f32 v[34:35], v[38:39], s[28:29] op_sel_hi:[0,1]
	s_waitcnt vmcnt(0)
	v_pk_mul_f32 v[40:41], v[10:11], s[28:29] op_sel:[1,0]
	v_pk_fma_f32 v[34:35], s[24:25], v[36:37], v[34:35] op_sel_hi:[1,0,1]
	v_pk_fma_f32 v[10:11], s[24:25], v[10:11], v[40:41] op_sel_hi:[1,0,1]
	ds_write2_b64 v2, v[0:1], v[34:35] offset0:1 offset1:2
	ds_write_b64 v2, v[10:11] offset:24
.LBB16_23:                              ;   in Loop: Header=BB16_16 Depth=2
	s_or_b64 exec, exec, s[36:37]
	s_mov_b64 s[36:37], -1
	s_and_saveexec_b64 s[38:39], s[2:3]
	s_cbranch_execz .LBB16_15
; %bb.24:                               ;   in Loop: Header=BB16_16 Depth=2
	v_add_u32_e32 v4, 32, v4
	v_cmp_ge_i32_e32 vcc, v4, v14
	v_add_u32_e32 v8, 0x80, v8
	s_orn2_b64 s[36:37], vcc, exec
	s_branch .LBB16_15
.LBB16_25:                              ;   in Loop: Header=BB16_13 Depth=1
	s_or_b64 exec, exec, s[34:35]
.LBB16_26:                              ;   in Loop: Header=BB16_13 Depth=1
	s_or_b64 exec, exec, s[10:11]
	v_cmp_lt_i32_e32 vcc, v6, v15
	s_waitcnt lgkmcnt(0)
	s_and_saveexec_b64 s[10:11], vcc
	s_cbranch_execz .LBB16_39
; %bb.27:                               ;   in Loop: Header=BB16_13 Depth=1
	v_lshlrev_b32_e32 v8, 2, v6
	s_mov_b64 s[34:35], 0
	s_branch .LBB16_29
.LBB16_28:                              ;   in Loop: Header=BB16_29 Depth=2
	s_or_b64 exec, exec, s[38:39]
	s_and_b64 s[2:3], exec, s[36:37]
	s_or_b64 s[34:35], s[2:3], s[34:35]
	s_andn2_b64 exec, exec, s[34:35]
	s_cbranch_execz .LBB16_38
.LBB16_29:                              ;   Parent Loop BB16_13 Depth=1
                                        ; =>  This Inner Loop Header: Depth=2
	v_ashrrev_i32_e32 v7, 31, v6
	v_lshl_add_u64 v[0:1], v[6:7], 2, s[18:19]
	global_load_dword v0, v[0:1], off
	s_waitcnt vmcnt(0)
	v_subrev_u32_e32 v0, s9, v0
	v_sub_u32_e32 v7, v0, v26
	v_cmp_gt_u32_e64 s[2:3], 32, v7
	v_cmp_lt_u32_e32 vcc, 31, v7
	s_and_saveexec_b64 s[36:37], vcc
	s_xor_b64 s[36:37], exec, s[36:37]
; %bb.30:                               ;   in Loop: Header=BB16_29 Depth=2
	v_min_i32_e32 v28, v0, v28
                                        ; implicit-def: $vgpr7
; %bb.31:                               ;   in Loop: Header=BB16_29 Depth=2
	s_andn2_saveexec_b64 s[36:37], s[36:37]
	s_cbranch_execz .LBB16_36
; %bb.32:                               ;   in Loop: Header=BB16_29 Depth=2
	v_lshl_add_u64 v[10:11], v[8:9], 3, s[16:17]
	global_load_dwordx2 v[34:35], v[10:11], off
	v_lshlrev_b32_e32 v0, 5, v7
	v_add_u32_e32 v5, v13, v0
	ds_read_b128 v[0:3], v5
	v_add_u32_e32 v7, v12, v7
	s_and_b64 vcc, exec, s[0:1]
	s_mov_b64 s[38:39], -1
	ds_write_b8 v7, v27
	s_waitcnt vmcnt(0) lgkmcnt(1)
	v_pk_fma_f32 v[0:1], s[26:27], v[34:35], v[0:1] op_sel_hi:[1,0,1]
	s_nop 0
	v_pk_fma_f32 v[0:1], s[30:31], v[34:35], v[0:1] op_sel:[0,1,0]
	ds_write_b64 v5, v[0:1]
	s_cbranch_vccnz .LBB16_34
; %bb.33:                               ;   in Loop: Header=BB16_29 Depth=2
	global_load_dwordx4 v[34:37], v[10:11], off offset:8
	global_load_dwordx2 v[0:1], v[10:11], off offset:24
	ds_read_b128 v[38:41], v5 offset:16
	s_mov_b64 s[38:39], 0
	s_waitcnt vmcnt(1)
	v_pk_fma_f32 v[42:43], s[26:27], v[36:37], v[2:3] op_sel_hi:[1,0,1]
	v_mov_b32_e32 v36, v37
	s_waitcnt lgkmcnt(0)
	v_pk_fma_f32 v[38:39], s[26:27], v[34:35], v[38:39] op_sel_hi:[1,0,1]
	s_waitcnt vmcnt(0)
	v_pk_fma_f32 v[40:41], s[26:27], v[0:1], v[40:41] op_sel_hi:[1,0,1]
	v_pk_fma_f32 v[36:37], s[30:31], v[36:37], v[42:43] op_sel_hi:[1,0,1]
	v_pk_fma_f32 v[34:35], s[30:31], v[34:35], v[38:39] op_sel:[0,1,0]
	v_pk_fma_f32 v[0:1], s[30:31], v[0:1], v[40:41] op_sel:[0,1,0]
	ds_write2_b64 v5, v[36:37], v[34:35] offset0:1 offset1:2
	ds_write_b64 v5, v[0:1] offset:24
.LBB16_34:                              ;   in Loop: Header=BB16_29 Depth=2
	s_andn2_b64 vcc, exec, s[38:39]
	s_cbranch_vccnz .LBB16_36
; %bb.35:                               ;   in Loop: Header=BB16_29 Depth=2
	global_load_dwordx4 v[34:37], v[10:11], off offset:8
	global_load_dwordx2 v[0:1], v[10:11], off offset:24
	ds_read_b128 v[38:41], v5 offset:16
	s_waitcnt vmcnt(1)
	v_pk_fma_f32 v[2:3], s[26:27], v[34:35], v[2:3] op_sel_hi:[1,0,1]
	s_waitcnt lgkmcnt(0)
	v_pk_fma_f32 v[10:11], s[26:27], v[36:37], v[38:39] op_sel_hi:[1,0,1]
	v_mov_b32_e32 v36, v37
	s_waitcnt vmcnt(0)
	v_pk_fma_f32 v[38:39], s[26:27], v[0:1], v[40:41] op_sel_hi:[1,0,1]
	v_pk_fma_f32 v[2:3], s[30:31], v[34:35], v[2:3] op_sel:[0,1,0]
	v_pk_fma_f32 v[10:11], s[30:31], v[36:37], v[10:11] op_sel_hi:[1,0,1]
	v_pk_fma_f32 v[0:1], s[30:31], v[0:1], v[38:39] op_sel:[0,1,0]
	ds_write2_b64 v5, v[2:3], v[10:11] offset0:1 offset1:2
	ds_write_b64 v5, v[0:1] offset:24
.LBB16_36:                              ;   in Loop: Header=BB16_29 Depth=2
	s_or_b64 exec, exec, s[36:37]
	s_mov_b64 s[36:37], -1
	s_and_saveexec_b64 s[38:39], s[2:3]
	s_cbranch_execz .LBB16_28
; %bb.37:                               ;   in Loop: Header=BB16_29 Depth=2
	v_add_u32_e32 v6, 32, v6
	v_cmp_ge_i32_e32 vcc, v6, v15
	v_add_u32_e32 v8, 0x80, v8
	s_orn2_b64 s[36:37], vcc, exec
	s_branch .LBB16_28
.LBB16_38:                              ;   in Loop: Header=BB16_13 Depth=1
	s_or_b64 exec, exec, s[34:35]
.LBB16_39:                              ;   in Loop: Header=BB16_13 Depth=1
	s_or_b64 exec, exec, s[10:11]
	s_waitcnt lgkmcnt(0)
	ds_read_u8 v0, v25
	s_waitcnt lgkmcnt(0)
	v_and_b32_e32 v1, 1, v0
	v_cmp_eq_u32_e64 s[2:3], 1, v1
	v_cmp_ne_u16_e32 vcc, 0, v0
	s_and_saveexec_b64 s[10:11], s[2:3]
	s_cbranch_execz .LBB16_12
; %bb.40:                               ;   in Loop: Header=BB16_13 Depth=1
	v_and_b32_e32 v0, vcc_lo, v18
	ds_read2_b64 v[34:37], v17 offset1:3
	v_bcnt_u32_b32 v0, v0, 0
	v_add3_u32 v0, v16, v0, -1
	v_ashrrev_i32_e32 v1, 31, v0
	v_lshl_add_u64 v[2:3], v[0:1], 2, s[20:21]
	v_add_u32_e32 v1, s7, v17
	s_waitcnt lgkmcnt(0)
	v_mov_b32_e32 v38, v34
	v_mov_b32_e32 v39, v35
	v_add_u32_e32 v7, s33, v17
	ds_read_b64 v[40:41], v1
	ds_read_b64 v[34:35], v7
	v_lshlrev_b32_e32 v8, 2, v0
	v_add_u32_e32 v5, v19, v26
	v_lshl_add_u64 v[0:1], v[8:9], 3, s[22:23]
	global_store_dword v[2:3], v5, off
	s_waitcnt lgkmcnt(1)
	global_store_dwordx4 v[0:1], v[38:41], off
	s_waitcnt lgkmcnt(0)
	global_store_dwordx4 v[0:1], v[34:37], off offset:16
	s_branch .LBB16_12
.LBB16_41:
	s_endpgm
.LBB16_42:
	s_load_dword s25, s[12:13], 0x4
	s_and_b64 vcc, exec, s[4:5]
	s_mov_b32 s26, s6
	s_cbranch_vccnz .LBB16_4
.LBB16_43:
	s_load_dword s26, s[6:7], 0x0
	s_and_b64 vcc, exec, s[4:5]
	s_mov_b32 s27, s7
	s_cbranch_vccz .LBB16_5
	s_branch .LBB16_6
	.section	.rodata,"a",@progbits
	.p2align	6, 0x0
	.amdhsa_kernel _ZN9rocsparseL39bsrgeam_wf_per_row_multipass_2_3_kernelILj256ELj2ELj32E21rocsparse_complex_numIfEEEv20rocsparse_direction_iiiNS_24const_host_device_scalarIT2_EEPKiS8_PKS5_S6_S8_S8_SA_S8_PiPS5_21rocsparse_index_base_SD_SD_b
		.amdhsa_group_segment_fixed_size 8448
		.amdhsa_private_segment_fixed_size 0
		.amdhsa_kernarg_size 120
		.amdhsa_user_sgpr_count 2
		.amdhsa_user_sgpr_dispatch_ptr 0
		.amdhsa_user_sgpr_queue_ptr 0
		.amdhsa_user_sgpr_kernarg_segment_ptr 1
		.amdhsa_user_sgpr_dispatch_id 0
		.amdhsa_user_sgpr_kernarg_preload_length 0
		.amdhsa_user_sgpr_kernarg_preload_offset 0
		.amdhsa_user_sgpr_private_segment_size 0
		.amdhsa_uses_dynamic_stack 0
		.amdhsa_enable_private_segment 0
		.amdhsa_system_sgpr_workgroup_id_x 1
		.amdhsa_system_sgpr_workgroup_id_y 0
		.amdhsa_system_sgpr_workgroup_id_z 0
		.amdhsa_system_sgpr_workgroup_info 0
		.amdhsa_system_vgpr_workitem_id 0
		.amdhsa_next_free_vgpr 44
		.amdhsa_next_free_sgpr 40
		.amdhsa_accum_offset 44
		.amdhsa_reserve_vcc 1
		.amdhsa_float_round_mode_32 0
		.amdhsa_float_round_mode_16_64 0
		.amdhsa_float_denorm_mode_32 3
		.amdhsa_float_denorm_mode_16_64 3
		.amdhsa_dx10_clamp 1
		.amdhsa_ieee_mode 1
		.amdhsa_fp16_overflow 0
		.amdhsa_tg_split 0
		.amdhsa_exception_fp_ieee_invalid_op 0
		.amdhsa_exception_fp_denorm_src 0
		.amdhsa_exception_fp_ieee_div_zero 0
		.amdhsa_exception_fp_ieee_overflow 0
		.amdhsa_exception_fp_ieee_underflow 0
		.amdhsa_exception_fp_ieee_inexact 0
		.amdhsa_exception_int_div_zero 0
	.end_amdhsa_kernel
	.section	.text._ZN9rocsparseL39bsrgeam_wf_per_row_multipass_2_3_kernelILj256ELj2ELj32E21rocsparse_complex_numIfEEEv20rocsparse_direction_iiiNS_24const_host_device_scalarIT2_EEPKiS8_PKS5_S6_S8_S8_SA_S8_PiPS5_21rocsparse_index_base_SD_SD_b,"axG",@progbits,_ZN9rocsparseL39bsrgeam_wf_per_row_multipass_2_3_kernelILj256ELj2ELj32E21rocsparse_complex_numIfEEEv20rocsparse_direction_iiiNS_24const_host_device_scalarIT2_EEPKiS8_PKS5_S6_S8_S8_SA_S8_PiPS5_21rocsparse_index_base_SD_SD_b,comdat
.Lfunc_end16:
	.size	_ZN9rocsparseL39bsrgeam_wf_per_row_multipass_2_3_kernelILj256ELj2ELj32E21rocsparse_complex_numIfEEEv20rocsparse_direction_iiiNS_24const_host_device_scalarIT2_EEPKiS8_PKS5_S6_S8_S8_SA_S8_PiPS5_21rocsparse_index_base_SD_SD_b, .Lfunc_end16-_ZN9rocsparseL39bsrgeam_wf_per_row_multipass_2_3_kernelILj256ELj2ELj32E21rocsparse_complex_numIfEEEv20rocsparse_direction_iiiNS_24const_host_device_scalarIT2_EEPKiS8_PKS5_S6_S8_S8_SA_S8_PiPS5_21rocsparse_index_base_SD_SD_b
                                        ; -- End function
	.set _ZN9rocsparseL39bsrgeam_wf_per_row_multipass_2_3_kernelILj256ELj2ELj32E21rocsparse_complex_numIfEEEv20rocsparse_direction_iiiNS_24const_host_device_scalarIT2_EEPKiS8_PKS5_S6_S8_S8_SA_S8_PiPS5_21rocsparse_index_base_SD_SD_b.num_vgpr, 44
	.set _ZN9rocsparseL39bsrgeam_wf_per_row_multipass_2_3_kernelILj256ELj2ELj32E21rocsparse_complex_numIfEEEv20rocsparse_direction_iiiNS_24const_host_device_scalarIT2_EEPKiS8_PKS5_S6_S8_S8_SA_S8_PiPS5_21rocsparse_index_base_SD_SD_b.num_agpr, 0
	.set _ZN9rocsparseL39bsrgeam_wf_per_row_multipass_2_3_kernelILj256ELj2ELj32E21rocsparse_complex_numIfEEEv20rocsparse_direction_iiiNS_24const_host_device_scalarIT2_EEPKiS8_PKS5_S6_S8_S8_SA_S8_PiPS5_21rocsparse_index_base_SD_SD_b.numbered_sgpr, 40
	.set _ZN9rocsparseL39bsrgeam_wf_per_row_multipass_2_3_kernelILj256ELj2ELj32E21rocsparse_complex_numIfEEEv20rocsparse_direction_iiiNS_24const_host_device_scalarIT2_EEPKiS8_PKS5_S6_S8_S8_SA_S8_PiPS5_21rocsparse_index_base_SD_SD_b.num_named_barrier, 0
	.set _ZN9rocsparseL39bsrgeam_wf_per_row_multipass_2_3_kernelILj256ELj2ELj32E21rocsparse_complex_numIfEEEv20rocsparse_direction_iiiNS_24const_host_device_scalarIT2_EEPKiS8_PKS5_S6_S8_S8_SA_S8_PiPS5_21rocsparse_index_base_SD_SD_b.private_seg_size, 0
	.set _ZN9rocsparseL39bsrgeam_wf_per_row_multipass_2_3_kernelILj256ELj2ELj32E21rocsparse_complex_numIfEEEv20rocsparse_direction_iiiNS_24const_host_device_scalarIT2_EEPKiS8_PKS5_S6_S8_S8_SA_S8_PiPS5_21rocsparse_index_base_SD_SD_b.uses_vcc, 1
	.set _ZN9rocsparseL39bsrgeam_wf_per_row_multipass_2_3_kernelILj256ELj2ELj32E21rocsparse_complex_numIfEEEv20rocsparse_direction_iiiNS_24const_host_device_scalarIT2_EEPKiS8_PKS5_S6_S8_S8_SA_S8_PiPS5_21rocsparse_index_base_SD_SD_b.uses_flat_scratch, 0
	.set _ZN9rocsparseL39bsrgeam_wf_per_row_multipass_2_3_kernelILj256ELj2ELj32E21rocsparse_complex_numIfEEEv20rocsparse_direction_iiiNS_24const_host_device_scalarIT2_EEPKiS8_PKS5_S6_S8_S8_SA_S8_PiPS5_21rocsparse_index_base_SD_SD_b.has_dyn_sized_stack, 0
	.set _ZN9rocsparseL39bsrgeam_wf_per_row_multipass_2_3_kernelILj256ELj2ELj32E21rocsparse_complex_numIfEEEv20rocsparse_direction_iiiNS_24const_host_device_scalarIT2_EEPKiS8_PKS5_S6_S8_S8_SA_S8_PiPS5_21rocsparse_index_base_SD_SD_b.has_recursion, 0
	.set _ZN9rocsparseL39bsrgeam_wf_per_row_multipass_2_3_kernelILj256ELj2ELj32E21rocsparse_complex_numIfEEEv20rocsparse_direction_iiiNS_24const_host_device_scalarIT2_EEPKiS8_PKS5_S6_S8_S8_SA_S8_PiPS5_21rocsparse_index_base_SD_SD_b.has_indirect_call, 0
	.section	.AMDGPU.csdata,"",@progbits
; Kernel info:
; codeLenInByte = 1908
; TotalNumSgprs: 46
; NumVgprs: 44
; NumAgprs: 0
; TotalNumVgprs: 44
; ScratchSize: 0
; MemoryBound: 0
; FloatMode: 240
; IeeeMode: 1
; LDSByteSize: 8448 bytes/workgroup (compile time only)
; SGPRBlocks: 5
; VGPRBlocks: 5
; NumSGPRsForWavesPerEU: 46
; NumVGPRsForWavesPerEU: 44
; AccumOffset: 44
; Occupancy: 8
; WaveLimiterHint : 1
; COMPUTE_PGM_RSRC2:SCRATCH_EN: 0
; COMPUTE_PGM_RSRC2:USER_SGPR: 2
; COMPUTE_PGM_RSRC2:TRAP_HANDLER: 0
; COMPUTE_PGM_RSRC2:TGID_X_EN: 1
; COMPUTE_PGM_RSRC2:TGID_Y_EN: 0
; COMPUTE_PGM_RSRC2:TGID_Z_EN: 0
; COMPUTE_PGM_RSRC2:TIDIG_COMP_CNT: 0
; COMPUTE_PGM_RSRC3_GFX90A:ACCUM_OFFSET: 10
; COMPUTE_PGM_RSRC3_GFX90A:TG_SPLIT: 0
	.section	.text._ZN9rocsparseL39bsrgeam_wf_per_row_multipass_2_3_kernelILj256ELj2ELj64E21rocsparse_complex_numIfEEEv20rocsparse_direction_iiiNS_24const_host_device_scalarIT2_EEPKiS8_PKS5_S6_S8_S8_SA_S8_PiPS5_21rocsparse_index_base_SD_SD_b,"axG",@progbits,_ZN9rocsparseL39bsrgeam_wf_per_row_multipass_2_3_kernelILj256ELj2ELj64E21rocsparse_complex_numIfEEEv20rocsparse_direction_iiiNS_24const_host_device_scalarIT2_EEPKiS8_PKS5_S6_S8_S8_SA_S8_PiPS5_21rocsparse_index_base_SD_SD_b,comdat
	.globl	_ZN9rocsparseL39bsrgeam_wf_per_row_multipass_2_3_kernelILj256ELj2ELj64E21rocsparse_complex_numIfEEEv20rocsparse_direction_iiiNS_24const_host_device_scalarIT2_EEPKiS8_PKS5_S6_S8_S8_SA_S8_PiPS5_21rocsparse_index_base_SD_SD_b ; -- Begin function _ZN9rocsparseL39bsrgeam_wf_per_row_multipass_2_3_kernelILj256ELj2ELj64E21rocsparse_complex_numIfEEEv20rocsparse_direction_iiiNS_24const_host_device_scalarIT2_EEPKiS8_PKS5_S6_S8_S8_SA_S8_PiPS5_21rocsparse_index_base_SD_SD_b
	.p2align	8
	.type	_ZN9rocsparseL39bsrgeam_wf_per_row_multipass_2_3_kernelILj256ELj2ELj64E21rocsparse_complex_numIfEEEv20rocsparse_direction_iiiNS_24const_host_device_scalarIT2_EEPKiS8_PKS5_S6_S8_S8_SA_S8_PiPS5_21rocsparse_index_base_SD_SD_b,@function
_ZN9rocsparseL39bsrgeam_wf_per_row_multipass_2_3_kernelILj256ELj2ELj64E21rocsparse_complex_numIfEEEv20rocsparse_direction_iiiNS_24const_host_device_scalarIT2_EEPKiS8_PKS5_S6_S8_S8_SA_S8_PiPS5_21rocsparse_index_base_SD_SD_b: ; @_ZN9rocsparseL39bsrgeam_wf_per_row_multipass_2_3_kernelILj256ELj2ELj64E21rocsparse_complex_numIfEEEv20rocsparse_direction_iiiNS_24const_host_device_scalarIT2_EEPKiS8_PKS5_S6_S8_S8_SA_S8_PiPS5_21rocsparse_index_base_SD_SD_b
; %bb.0:
	s_load_dwordx4 s[8:11], s[0:1], 0x68
	s_load_dwordx2 s[12:13], s[0:1], 0x10
	s_load_dwordx2 s[6:7], s[0:1], 0x30
	s_waitcnt lgkmcnt(0)
	s_bitcmp1_b32 s11, 0
	s_cselect_b64 s[4:5], -1, 0
	s_xor_b64 s[14:15], s[4:5], -1
	s_and_b64 vcc, exec, s[4:5]
	s_mov_b32 s24, s12
	s_cbranch_vccnz .LBB17_2
; %bb.1:
	s_load_dword s24, s[12:13], 0x0
.LBB17_2:
	v_cndmask_b32_e64 v1, 0, 1, s[14:15]
	v_cmp_ne_u32_e64 s[4:5], 1, v1
	s_andn2_b64 vcc, exec, s[14:15]
	s_mov_b32 s25, s13
	s_cbranch_vccz .LBB17_42
; %bb.3:
	s_and_b64 vcc, exec, s[4:5]
	s_mov_b32 s26, s6
	s_cbranch_vccz .LBB17_43
.LBB17_4:
	s_and_b64 vcc, exec, s[4:5]
	s_mov_b32 s27, s7
	s_cbranch_vccnz .LBB17_6
.LBB17_5:
	s_load_dword s27, s[6:7], 0x4
.LBB17_6:
	s_nop 0
	s_load_dwordx4 s[4:7], s[0:1], 0x0
	s_lshl_b32 s2, s2, 2
	v_lshrrev_b32_e32 v1, 6, v0
	s_and_b32 s2, s2, 0x3fffffc
	v_or_b32_e32 v2, s2, v1
	s_waitcnt lgkmcnt(0)
	v_cmp_gt_i32_e32 vcc, s5, v2
	s_and_saveexec_b64 s[2:3], vcc
	s_cbranch_execz .LBB17_41
; %bb.7:
	s_load_dwordx4 s[12:15], s[0:1], 0x18
	s_load_dwordx4 s[16:19], s[0:1], 0x38
	s_load_dwordx2 s[2:3], s[0:1], 0x50
	v_lshlrev_b32_e32 v6, 2, v2
	s_waitcnt lgkmcnt(0)
	global_load_dwordx2 v[2:3], v6, s[12:13]
	global_load_dwordx2 v[4:5], v6, s[16:17]
	global_load_dword v10, v6, s[2:3]
	s_waitcnt vmcnt(2)
	v_subrev_u32_e32 v6, s8, v2
	v_cmp_lt_i32_e32 vcc, v2, v3
	v_mov_b32_e32 v2, s6
	s_and_saveexec_b64 s[2:3], vcc
	s_cbranch_execz .LBB17_9
; %bb.8:
	v_ashrrev_i32_e32 v7, 31, v6
	v_lshl_add_u64 v[8:9], v[6:7], 2, s[14:15]
	global_load_dword v2, v[8:9], off
	s_waitcnt vmcnt(0)
	v_subrev_u32_e32 v2, s8, v2
.LBB17_9:
	s_or_b64 exec, exec, s[2:3]
	s_load_dwordx4 s[20:23], s[0:1], 0x58
	s_load_dwordx2 s[12:13], s[0:1], 0x28
	s_load_dwordx2 s[16:17], s[0:1], 0x48
	s_waitcnt vmcnt(1)
	v_subrev_u32_e32 v8, s9, v4
	v_cmp_lt_i32_e32 vcc, v4, v5
	v_mov_b32_e32 v4, s6
	s_and_saveexec_b64 s[0:1], vcc
	s_cbranch_execz .LBB17_11
; %bb.10:
	v_ashrrev_i32_e32 v9, 31, v8
	v_lshl_add_u64 v[12:13], v[8:9], 2, s[18:19]
	global_load_dword v4, v[12:13], off
	s_waitcnt vmcnt(0)
	v_subrev_u32_e32 v4, s9, v4
.LBB17_11:
	s_or_b64 exec, exec, s[0:1]
	v_min_i32_e32 v27, v4, v2
	v_mbcnt_lo_u32_b32 v2, -1, 0
	v_mbcnt_hi_u32_b32 v2, -1, v2
	v_and_b32_e32 v7, 0xc0, v0
	v_lshlrev_b32_e32 v15, 11, v1
	v_subrev_u32_e32 v16, s8, v3
	v_and_b32_e32 v1, 63, v0
	v_and_b32_e32 v3, 64, v2
	v_bitop3_b32 v0, v0, 63, v0 bitop3:0xc
	v_add_u32_e32 v4, v6, v1
	v_add_u32_e32 v6, v8, v1
	;; [unrolled: 1-line block ×3, first 2 shown]
	v_lshrrev_b64 v[8:9], v0, -1
	v_xor_b32_e32 v0, 32, v2
	v_cmp_lt_i32_e32 vcc, v0, v3
	s_mov_b32 s0, 0
	s_cmp_lg_u32 s4, 0
	v_cndmask_b32_e32 v0, v2, v0, vcc
	v_lshlrev_b32_e32 v21, 2, v0
	v_xor_b32_e32 v0, 16, v2
	v_cmp_lt_i32_e32 vcc, v0, v3
	s_cselect_b64 s[34:35], -1, 0
	s_xor_b32 s28, s25, 0x80000000
	v_cndmask_b32_e32 v0, v2, v0, vcc
	v_lshlrev_b32_e32 v22, 2, v0
	v_xor_b32_e32 v0, 8, v2
	v_cmp_lt_i32_e32 vcc, v0, v3
	s_xor_b32 s30, s27, 0x80000000
	s_mov_b32 s2, s0
	v_cndmask_b32_e32 v0, v2, v0, vcc
	v_lshlrev_b32_e32 v23, 2, v0
	v_xor_b32_e32 v0, 4, v2
	v_cmp_lt_i32_e32 vcc, v0, v3
	s_mov_b32 s3, s0
	v_or_b32_e32 v14, 0x2000, v7
	v_cndmask_b32_e32 v0, v2, v0, vcc
	v_lshlrev_b32_e32 v24, 2, v0
	v_xor_b32_e32 v0, 2, v2
	v_cmp_lt_i32_e32 vcc, v0, v3
	s_cmp_eq_u32 s4, 0
	s_mov_b32 s1, s0
	v_cndmask_b32_e32 v0, v2, v0, vcc
	v_lshlrev_b32_e32 v25, 2, v0
	v_xor_b32_e32 v0, 1, v2
	v_cmp_lt_i32_e32 vcc, v0, v3
	v_mov_b64_e32 v[34:35], s[2:3]
	v_subrev_u32_e32 v17, s9, v5
	v_cndmask_b32_e32 v0, v2, v0, vcc
	v_lshlrev_b32_e32 v26, 2, v0
	v_cndmask_b32_e64 v0, 0, 1, s[34:35]
	s_waitcnt vmcnt(0)
	v_subrev_u32_e32 v18, s10, v10
	v_lshl_or_b32 v19, v1, 5, v15
	v_add_u32_e32 v20, s10, v1
	s_cselect_b32 s7, 8, 16
	s_cselect_b32 s33, 16, 8
	s_mov_b32 s29, s24
	s_mov_b32 s31, s26
	s_mov_b64 s[4:5], 0
	v_add_u32_e32 v28, v14, v1
	v_mov_b32_e32 v11, 0
	v_mov_b64_e32 v[32:33], s[0:1]
	v_mov_b32_e32 v29, 1
	v_cmp_ne_u32_e64 s[0:1], 1, v0
	s_branch .LBB17_13
.LBB17_12:                              ;   in Loop: Header=BB17_13 Depth=1
	s_or_b64 exec, exec, s[10:11]
	ds_bpermute_b32 v0, v21, v30
	s_bcnt1_i32_b64 s2, vcc
	v_add_u32_e32 v18, s2, v18
	s_waitcnt lgkmcnt(0)
	v_min_i32_e32 v0, v0, v30
	ds_bpermute_b32 v1, v22, v0
	s_waitcnt lgkmcnt(0)
	v_min_i32_e32 v0, v1, v0
	ds_bpermute_b32 v1, v23, v0
	;; [unrolled: 3-line block ×5, first 2 shown]
	s_waitcnt lgkmcnt(0)
	v_min_i32_e32 v27, v1, v0
	v_cmp_le_i32_e32 vcc, s6, v27
	s_or_b64 s[4:5], vcc, s[4:5]
	s_andn2_b64 exec, exec, s[4:5]
	s_cbranch_execz .LBB17_41
.LBB17_13:                              ; =>This Loop Header: Depth=1
                                        ;     Child Loop BB17_16 Depth 2
                                        ;     Child Loop BB17_29 Depth 2
	v_cmp_lt_i32_e32 vcc, v4, v16
	v_mov_b32_e32 v30, s6
	ds_write_b8 v28, v11
	ds_write_b128 v19, v[32:35]
	ds_write_b128 v19, v[32:35] offset:16
	s_waitcnt lgkmcnt(0)
	s_and_saveexec_b64 s[10:11], vcc
	s_cbranch_execz .LBB17_26
; %bb.14:                               ;   in Loop: Header=BB17_13 Depth=1
	v_lshlrev_b32_e32 v10, 2, v4
	s_mov_b64 s[34:35], 0
	v_mov_b32_e32 v30, s6
	s_branch .LBB17_16
.LBB17_15:                              ;   in Loop: Header=BB17_16 Depth=2
	s_or_b64 exec, exec, s[38:39]
	s_and_b64 s[2:3], exec, s[36:37]
	s_or_b64 s[34:35], s[2:3], s[34:35]
	s_andn2_b64 exec, exec, s[34:35]
	s_cbranch_execz .LBB17_25
.LBB17_16:                              ;   Parent Loop BB17_13 Depth=1
                                        ; =>  This Inner Loop Header: Depth=2
	v_ashrrev_i32_e32 v5, 31, v4
	v_lshl_add_u64 v[0:1], v[4:5], 2, s[14:15]
	global_load_dword v0, v[0:1], off
	s_waitcnt vmcnt(0)
	v_subrev_u32_e32 v0, s8, v0
	v_sub_u32_e32 v2, v0, v27
	v_cmp_gt_u32_e64 s[2:3], 64, v2
	v_cmp_lt_u32_e32 vcc, 63, v2
	s_and_saveexec_b64 s[36:37], vcc
	s_xor_b64 s[36:37], exec, s[36:37]
; %bb.17:                               ;   in Loop: Header=BB17_16 Depth=2
	v_min_i32_e32 v30, v0, v30
                                        ; implicit-def: $vgpr2
; %bb.18:                               ;   in Loop: Header=BB17_16 Depth=2
	s_andn2_saveexec_b64 s[36:37], s[36:37]
	s_cbranch_execz .LBB17_23
; %bb.19:                               ;   in Loop: Header=BB17_16 Depth=2
	v_lshl_add_u64 v[0:1], v[10:11], 3, s[12:13]
	global_load_dwordx2 v[12:13], v[0:1], off
	v_add_u32_e32 v3, v14, v2
	v_lshlrev_b32_e32 v2, 5, v2
	s_and_b64 vcc, exec, s[0:1]
	v_add_u32_e32 v2, v15, v2
	s_mov_b64 s[38:39], -1
	ds_write_b8 v3, v29
	s_waitcnt vmcnt(0)
	v_pk_mul_f32 v[36:37], v[12:13], s[28:29] op_sel:[1,0]
	s_nop 0
	v_pk_fma_f32 v[12:13], s[24:25], v[12:13], v[36:37] op_sel_hi:[1,0,1]
	ds_write_b64 v2, v[12:13]
	s_cbranch_vccnz .LBB17_21
; %bb.20:                               ;   in Loop: Header=BB17_16 Depth=2
	global_load_dwordx4 v[36:39], v[0:1], off offset:8
	global_load_dwordx2 v[12:13], v[0:1], off offset:24
	s_mov_b64 s[38:39], 0
	s_waitcnt vmcnt(1)
	v_mov_b32_e32 v40, v39
	s_waitcnt vmcnt(0)
	v_pk_mul_f32 v[44:45], v[12:13], s[28:29] op_sel:[1,0]
	v_pk_mul_f32 v[42:43], v[36:37], s[28:29] op_sel:[1,0]
	v_pk_mul_f32 v[40:41], v[40:41], s[28:29] op_sel_hi:[0,1]
	v_pk_fma_f32 v[12:13], s[24:25], v[12:13], v[44:45] op_sel_hi:[1,0,1]
	v_pk_fma_f32 v[36:37], s[24:25], v[36:37], v[42:43] op_sel_hi:[1,0,1]
	;; [unrolled: 1-line block ×3, first 2 shown]
	ds_write_b64 v2, v[12:13] offset:24
	ds_write2_b64 v2, v[38:39], v[36:37] offset0:1 offset1:2
.LBB17_21:                              ;   in Loop: Header=BB17_16 Depth=2
	s_andn2_b64 vcc, exec, s[38:39]
	s_cbranch_vccnz .LBB17_23
; %bb.22:                               ;   in Loop: Header=BB17_16 Depth=2
	global_load_dwordx4 v[36:39], v[0:1], off offset:8
	global_load_dwordx2 v[12:13], v[0:1], off offset:24
	s_waitcnt vmcnt(1)
	v_pk_mul_f32 v[0:1], v[36:37], s[28:29] op_sel:[1,0]
	v_mov_b32_e32 v40, v39
	v_pk_fma_f32 v[0:1], s[24:25], v[36:37], v[0:1] op_sel_hi:[1,0,1]
	v_pk_mul_f32 v[36:37], v[40:41], s[28:29] op_sel_hi:[0,1]
	s_waitcnt vmcnt(0)
	v_pk_mul_f32 v[42:43], v[12:13], s[28:29] op_sel:[1,0]
	v_pk_fma_f32 v[36:37], s[24:25], v[38:39], v[36:37] op_sel_hi:[1,0,1]
	v_pk_fma_f32 v[12:13], s[24:25], v[12:13], v[42:43] op_sel_hi:[1,0,1]
	ds_write2_b64 v2, v[0:1], v[36:37] offset0:1 offset1:2
	ds_write_b64 v2, v[12:13] offset:24
.LBB17_23:                              ;   in Loop: Header=BB17_16 Depth=2
	s_or_b64 exec, exec, s[36:37]
	s_mov_b64 s[36:37], -1
	s_and_saveexec_b64 s[38:39], s[2:3]
	s_cbranch_execz .LBB17_15
; %bb.24:                               ;   in Loop: Header=BB17_16 Depth=2
	v_add_u32_e32 v4, 64, v4
	v_cmp_ge_i32_e32 vcc, v4, v16
	v_add_u32_e32 v10, 0x100, v10
	s_orn2_b64 s[36:37], vcc, exec
	s_branch .LBB17_15
.LBB17_25:                              ;   in Loop: Header=BB17_13 Depth=1
	s_or_b64 exec, exec, s[34:35]
.LBB17_26:                              ;   in Loop: Header=BB17_13 Depth=1
	s_or_b64 exec, exec, s[10:11]
	v_cmp_lt_i32_e32 vcc, v6, v17
	s_waitcnt lgkmcnt(0)
	s_and_saveexec_b64 s[10:11], vcc
	s_cbranch_execz .LBB17_39
; %bb.27:                               ;   in Loop: Header=BB17_13 Depth=1
	v_lshlrev_b32_e32 v10, 2, v6
	s_mov_b64 s[34:35], 0
	s_branch .LBB17_29
.LBB17_28:                              ;   in Loop: Header=BB17_29 Depth=2
	s_or_b64 exec, exec, s[38:39]
	s_and_b64 s[2:3], exec, s[36:37]
	s_or_b64 s[34:35], s[2:3], s[34:35]
	s_andn2_b64 exec, exec, s[34:35]
	s_cbranch_execz .LBB17_38
.LBB17_29:                              ;   Parent Loop BB17_13 Depth=1
                                        ; =>  This Inner Loop Header: Depth=2
	v_ashrrev_i32_e32 v7, 31, v6
	v_lshl_add_u64 v[0:1], v[6:7], 2, s[18:19]
	global_load_dword v0, v[0:1], off
	s_waitcnt vmcnt(0)
	v_subrev_u32_e32 v0, s9, v0
	v_sub_u32_e32 v7, v0, v27
	v_cmp_gt_u32_e64 s[2:3], 64, v7
	v_cmp_lt_u32_e32 vcc, 63, v7
	s_and_saveexec_b64 s[36:37], vcc
	s_xor_b64 s[36:37], exec, s[36:37]
; %bb.30:                               ;   in Loop: Header=BB17_29 Depth=2
	v_min_i32_e32 v30, v0, v30
                                        ; implicit-def: $vgpr7
; %bb.31:                               ;   in Loop: Header=BB17_29 Depth=2
	s_andn2_saveexec_b64 s[36:37], s[36:37]
	s_cbranch_execz .LBB17_36
; %bb.32:                               ;   in Loop: Header=BB17_29 Depth=2
	v_lshl_add_u64 v[12:13], v[10:11], 3, s[16:17]
	global_load_dwordx2 v[36:37], v[12:13], off
	v_lshlrev_b32_e32 v0, 5, v7
	v_add_u32_e32 v5, v15, v0
	ds_read_b128 v[0:3], v5
	v_add_u32_e32 v7, v14, v7
	s_and_b64 vcc, exec, s[0:1]
	s_mov_b64 s[38:39], -1
	ds_write_b8 v7, v29
	s_waitcnt vmcnt(0) lgkmcnt(1)
	v_pk_fma_f32 v[0:1], s[26:27], v[36:37], v[0:1] op_sel_hi:[1,0,1]
	s_nop 0
	v_pk_fma_f32 v[0:1], s[30:31], v[36:37], v[0:1] op_sel:[0,1,0]
	ds_write_b64 v5, v[0:1]
	s_cbranch_vccnz .LBB17_34
; %bb.33:                               ;   in Loop: Header=BB17_29 Depth=2
	global_load_dwordx4 v[36:39], v[12:13], off offset:8
	global_load_dwordx2 v[0:1], v[12:13], off offset:24
	ds_read_b128 v[40:43], v5 offset:16
	s_mov_b64 s[38:39], 0
	s_waitcnt vmcnt(1)
	v_pk_fma_f32 v[44:45], s[26:27], v[38:39], v[2:3] op_sel_hi:[1,0,1]
	v_mov_b32_e32 v38, v39
	s_waitcnt lgkmcnt(0)
	v_pk_fma_f32 v[40:41], s[26:27], v[36:37], v[40:41] op_sel_hi:[1,0,1]
	s_waitcnt vmcnt(0)
	v_pk_fma_f32 v[42:43], s[26:27], v[0:1], v[42:43] op_sel_hi:[1,0,1]
	v_pk_fma_f32 v[38:39], s[30:31], v[38:39], v[44:45] op_sel_hi:[1,0,1]
	v_pk_fma_f32 v[36:37], s[30:31], v[36:37], v[40:41] op_sel:[0,1,0]
	v_pk_fma_f32 v[0:1], s[30:31], v[0:1], v[42:43] op_sel:[0,1,0]
	ds_write2_b64 v5, v[38:39], v[36:37] offset0:1 offset1:2
	ds_write_b64 v5, v[0:1] offset:24
.LBB17_34:                              ;   in Loop: Header=BB17_29 Depth=2
	s_andn2_b64 vcc, exec, s[38:39]
	s_cbranch_vccnz .LBB17_36
; %bb.35:                               ;   in Loop: Header=BB17_29 Depth=2
	global_load_dwordx4 v[36:39], v[12:13], off offset:8
	global_load_dwordx2 v[0:1], v[12:13], off offset:24
	ds_read_b128 v[40:43], v5 offset:16
	s_waitcnt vmcnt(1)
	v_pk_fma_f32 v[2:3], s[26:27], v[36:37], v[2:3] op_sel_hi:[1,0,1]
	s_waitcnt lgkmcnt(0)
	v_pk_fma_f32 v[12:13], s[26:27], v[38:39], v[40:41] op_sel_hi:[1,0,1]
	v_mov_b32_e32 v38, v39
	s_waitcnt vmcnt(0)
	v_pk_fma_f32 v[40:41], s[26:27], v[0:1], v[42:43] op_sel_hi:[1,0,1]
	v_pk_fma_f32 v[2:3], s[30:31], v[36:37], v[2:3] op_sel:[0,1,0]
	v_pk_fma_f32 v[12:13], s[30:31], v[38:39], v[12:13] op_sel_hi:[1,0,1]
	v_pk_fma_f32 v[0:1], s[30:31], v[0:1], v[40:41] op_sel:[0,1,0]
	ds_write2_b64 v5, v[2:3], v[12:13] offset0:1 offset1:2
	ds_write_b64 v5, v[0:1] offset:24
.LBB17_36:                              ;   in Loop: Header=BB17_29 Depth=2
	s_or_b64 exec, exec, s[36:37]
	s_mov_b64 s[36:37], -1
	s_and_saveexec_b64 s[38:39], s[2:3]
	s_cbranch_execz .LBB17_28
; %bb.37:                               ;   in Loop: Header=BB17_29 Depth=2
	v_add_u32_e32 v6, 64, v6
	v_cmp_ge_i32_e32 vcc, v6, v17
	v_add_u32_e32 v10, 0x100, v10
	s_orn2_b64 s[36:37], vcc, exec
	s_branch .LBB17_28
.LBB17_38:                              ;   in Loop: Header=BB17_13 Depth=1
	s_or_b64 exec, exec, s[34:35]
.LBB17_39:                              ;   in Loop: Header=BB17_13 Depth=1
	s_or_b64 exec, exec, s[10:11]
	s_waitcnt lgkmcnt(0)
	ds_read_u8 v0, v28
	s_waitcnt lgkmcnt(0)
	v_and_b32_e32 v1, 1, v0
	v_cmp_eq_u32_e64 s[2:3], 1, v1
	v_cmp_ne_u16_e32 vcc, 0, v0
	s_and_saveexec_b64 s[10:11], s[2:3]
	s_cbranch_execz .LBB17_12
; %bb.40:                               ;   in Loop: Header=BB17_13 Depth=1
	v_and_b32_e32 v1, vcc_lo, v8
	v_and_b32_e32 v0, vcc_hi, v9
	v_bcnt_u32_b32 v1, v1, 0
	ds_read2_b64 v[36:39], v19 offset1:3
	v_bcnt_u32_b32 v0, v0, v1
	v_add3_u32 v0, v18, v0, -1
	v_ashrrev_i32_e32 v1, 31, v0
	v_lshl_add_u64 v[2:3], v[0:1], 2, s[20:21]
	v_add_u32_e32 v1, s7, v19
	s_waitcnt lgkmcnt(0)
	v_mov_b32_e32 v40, v36
	v_mov_b32_e32 v41, v37
	v_add_u32_e32 v7, s33, v19
	ds_read_b64 v[42:43], v1
	ds_read_b64 v[36:37], v7
	v_lshlrev_b32_e32 v10, 2, v0
	v_add_u32_e32 v5, v20, v27
	v_lshl_add_u64 v[0:1], v[10:11], 3, s[22:23]
	global_store_dword v[2:3], v5, off
	s_waitcnt lgkmcnt(1)
	global_store_dwordx4 v[0:1], v[40:43], off
	s_waitcnt lgkmcnt(0)
	global_store_dwordx4 v[0:1], v[36:39], off offset:16
	s_branch .LBB17_12
.LBB17_41:
	s_endpgm
.LBB17_42:
	s_load_dword s25, s[12:13], 0x4
	s_and_b64 vcc, exec, s[4:5]
	s_mov_b32 s26, s6
	s_cbranch_vccnz .LBB17_4
.LBB17_43:
	s_load_dword s26, s[6:7], 0x0
	s_and_b64 vcc, exec, s[4:5]
	s_mov_b32 s27, s7
	s_cbranch_vccz .LBB17_5
	s_branch .LBB17_6
	.section	.rodata,"a",@progbits
	.p2align	6, 0x0
	.amdhsa_kernel _ZN9rocsparseL39bsrgeam_wf_per_row_multipass_2_3_kernelILj256ELj2ELj64E21rocsparse_complex_numIfEEEv20rocsparse_direction_iiiNS_24const_host_device_scalarIT2_EEPKiS8_PKS5_S6_S8_S8_SA_S8_PiPS5_21rocsparse_index_base_SD_SD_b
		.amdhsa_group_segment_fixed_size 8448
		.amdhsa_private_segment_fixed_size 0
		.amdhsa_kernarg_size 120
		.amdhsa_user_sgpr_count 2
		.amdhsa_user_sgpr_dispatch_ptr 0
		.amdhsa_user_sgpr_queue_ptr 0
		.amdhsa_user_sgpr_kernarg_segment_ptr 1
		.amdhsa_user_sgpr_dispatch_id 0
		.amdhsa_user_sgpr_kernarg_preload_length 0
		.amdhsa_user_sgpr_kernarg_preload_offset 0
		.amdhsa_user_sgpr_private_segment_size 0
		.amdhsa_uses_dynamic_stack 0
		.amdhsa_enable_private_segment 0
		.amdhsa_system_sgpr_workgroup_id_x 1
		.amdhsa_system_sgpr_workgroup_id_y 0
		.amdhsa_system_sgpr_workgroup_id_z 0
		.amdhsa_system_sgpr_workgroup_info 0
		.amdhsa_system_vgpr_workitem_id 0
		.amdhsa_next_free_vgpr 46
		.amdhsa_next_free_sgpr 40
		.amdhsa_accum_offset 48
		.amdhsa_reserve_vcc 1
		.amdhsa_float_round_mode_32 0
		.amdhsa_float_round_mode_16_64 0
		.amdhsa_float_denorm_mode_32 3
		.amdhsa_float_denorm_mode_16_64 3
		.amdhsa_dx10_clamp 1
		.amdhsa_ieee_mode 1
		.amdhsa_fp16_overflow 0
		.amdhsa_tg_split 0
		.amdhsa_exception_fp_ieee_invalid_op 0
		.amdhsa_exception_fp_denorm_src 0
		.amdhsa_exception_fp_ieee_div_zero 0
		.amdhsa_exception_fp_ieee_overflow 0
		.amdhsa_exception_fp_ieee_underflow 0
		.amdhsa_exception_fp_ieee_inexact 0
		.amdhsa_exception_int_div_zero 0
	.end_amdhsa_kernel
	.section	.text._ZN9rocsparseL39bsrgeam_wf_per_row_multipass_2_3_kernelILj256ELj2ELj64E21rocsparse_complex_numIfEEEv20rocsparse_direction_iiiNS_24const_host_device_scalarIT2_EEPKiS8_PKS5_S6_S8_S8_SA_S8_PiPS5_21rocsparse_index_base_SD_SD_b,"axG",@progbits,_ZN9rocsparseL39bsrgeam_wf_per_row_multipass_2_3_kernelILj256ELj2ELj64E21rocsparse_complex_numIfEEEv20rocsparse_direction_iiiNS_24const_host_device_scalarIT2_EEPKiS8_PKS5_S6_S8_S8_SA_S8_PiPS5_21rocsparse_index_base_SD_SD_b,comdat
.Lfunc_end17:
	.size	_ZN9rocsparseL39bsrgeam_wf_per_row_multipass_2_3_kernelILj256ELj2ELj64E21rocsparse_complex_numIfEEEv20rocsparse_direction_iiiNS_24const_host_device_scalarIT2_EEPKiS8_PKS5_S6_S8_S8_SA_S8_PiPS5_21rocsparse_index_base_SD_SD_b, .Lfunc_end17-_ZN9rocsparseL39bsrgeam_wf_per_row_multipass_2_3_kernelILj256ELj2ELj64E21rocsparse_complex_numIfEEEv20rocsparse_direction_iiiNS_24const_host_device_scalarIT2_EEPKiS8_PKS5_S6_S8_S8_SA_S8_PiPS5_21rocsparse_index_base_SD_SD_b
                                        ; -- End function
	.set _ZN9rocsparseL39bsrgeam_wf_per_row_multipass_2_3_kernelILj256ELj2ELj64E21rocsparse_complex_numIfEEEv20rocsparse_direction_iiiNS_24const_host_device_scalarIT2_EEPKiS8_PKS5_S6_S8_S8_SA_S8_PiPS5_21rocsparse_index_base_SD_SD_b.num_vgpr, 46
	.set _ZN9rocsparseL39bsrgeam_wf_per_row_multipass_2_3_kernelILj256ELj2ELj64E21rocsparse_complex_numIfEEEv20rocsparse_direction_iiiNS_24const_host_device_scalarIT2_EEPKiS8_PKS5_S6_S8_S8_SA_S8_PiPS5_21rocsparse_index_base_SD_SD_b.num_agpr, 0
	.set _ZN9rocsparseL39bsrgeam_wf_per_row_multipass_2_3_kernelILj256ELj2ELj64E21rocsparse_complex_numIfEEEv20rocsparse_direction_iiiNS_24const_host_device_scalarIT2_EEPKiS8_PKS5_S6_S8_S8_SA_S8_PiPS5_21rocsparse_index_base_SD_SD_b.numbered_sgpr, 40
	.set _ZN9rocsparseL39bsrgeam_wf_per_row_multipass_2_3_kernelILj256ELj2ELj64E21rocsparse_complex_numIfEEEv20rocsparse_direction_iiiNS_24const_host_device_scalarIT2_EEPKiS8_PKS5_S6_S8_S8_SA_S8_PiPS5_21rocsparse_index_base_SD_SD_b.num_named_barrier, 0
	.set _ZN9rocsparseL39bsrgeam_wf_per_row_multipass_2_3_kernelILj256ELj2ELj64E21rocsparse_complex_numIfEEEv20rocsparse_direction_iiiNS_24const_host_device_scalarIT2_EEPKiS8_PKS5_S6_S8_S8_SA_S8_PiPS5_21rocsparse_index_base_SD_SD_b.private_seg_size, 0
	.set _ZN9rocsparseL39bsrgeam_wf_per_row_multipass_2_3_kernelILj256ELj2ELj64E21rocsparse_complex_numIfEEEv20rocsparse_direction_iiiNS_24const_host_device_scalarIT2_EEPKiS8_PKS5_S6_S8_S8_SA_S8_PiPS5_21rocsparse_index_base_SD_SD_b.uses_vcc, 1
	.set _ZN9rocsparseL39bsrgeam_wf_per_row_multipass_2_3_kernelILj256ELj2ELj64E21rocsparse_complex_numIfEEEv20rocsparse_direction_iiiNS_24const_host_device_scalarIT2_EEPKiS8_PKS5_S6_S8_S8_SA_S8_PiPS5_21rocsparse_index_base_SD_SD_b.uses_flat_scratch, 0
	.set _ZN9rocsparseL39bsrgeam_wf_per_row_multipass_2_3_kernelILj256ELj2ELj64E21rocsparse_complex_numIfEEEv20rocsparse_direction_iiiNS_24const_host_device_scalarIT2_EEPKiS8_PKS5_S6_S8_S8_SA_S8_PiPS5_21rocsparse_index_base_SD_SD_b.has_dyn_sized_stack, 0
	.set _ZN9rocsparseL39bsrgeam_wf_per_row_multipass_2_3_kernelILj256ELj2ELj64E21rocsparse_complex_numIfEEEv20rocsparse_direction_iiiNS_24const_host_device_scalarIT2_EEPKiS8_PKS5_S6_S8_S8_SA_S8_PiPS5_21rocsparse_index_base_SD_SD_b.has_recursion, 0
	.set _ZN9rocsparseL39bsrgeam_wf_per_row_multipass_2_3_kernelILj256ELj2ELj64E21rocsparse_complex_numIfEEEv20rocsparse_direction_iiiNS_24const_host_device_scalarIT2_EEPKiS8_PKS5_S6_S8_S8_SA_S8_PiPS5_21rocsparse_index_base_SD_SD_b.has_indirect_call, 0
	.section	.AMDGPU.csdata,"",@progbits
; Kernel info:
; codeLenInByte = 1952
; TotalNumSgprs: 46
; NumVgprs: 46
; NumAgprs: 0
; TotalNumVgprs: 46
; ScratchSize: 0
; MemoryBound: 0
; FloatMode: 240
; IeeeMode: 1
; LDSByteSize: 8448 bytes/workgroup (compile time only)
; SGPRBlocks: 5
; VGPRBlocks: 5
; NumSGPRsForWavesPerEU: 46
; NumVGPRsForWavesPerEU: 46
; AccumOffset: 48
; Occupancy: 8
; WaveLimiterHint : 1
; COMPUTE_PGM_RSRC2:SCRATCH_EN: 0
; COMPUTE_PGM_RSRC2:USER_SGPR: 2
; COMPUTE_PGM_RSRC2:TRAP_HANDLER: 0
; COMPUTE_PGM_RSRC2:TGID_X_EN: 1
; COMPUTE_PGM_RSRC2:TGID_Y_EN: 0
; COMPUTE_PGM_RSRC2:TGID_Z_EN: 0
; COMPUTE_PGM_RSRC2:TIDIG_COMP_CNT: 0
; COMPUTE_PGM_RSRC3_GFX90A:ACCUM_OFFSET: 11
; COMPUTE_PGM_RSRC3_GFX90A:TG_SPLIT: 0
	.section	.text._ZN9rocsparseL39bsrgeam_wf_per_row_multipass_2_3_kernelILj256ELj3ELj32E21rocsparse_complex_numIfEEEv20rocsparse_direction_iiiNS_24const_host_device_scalarIT2_EEPKiS8_PKS5_S6_S8_S8_SA_S8_PiPS5_21rocsparse_index_base_SD_SD_b,"axG",@progbits,_ZN9rocsparseL39bsrgeam_wf_per_row_multipass_2_3_kernelILj256ELj3ELj32E21rocsparse_complex_numIfEEEv20rocsparse_direction_iiiNS_24const_host_device_scalarIT2_EEPKiS8_PKS5_S6_S8_S8_SA_S8_PiPS5_21rocsparse_index_base_SD_SD_b,comdat
	.globl	_ZN9rocsparseL39bsrgeam_wf_per_row_multipass_2_3_kernelILj256ELj3ELj32E21rocsparse_complex_numIfEEEv20rocsparse_direction_iiiNS_24const_host_device_scalarIT2_EEPKiS8_PKS5_S6_S8_S8_SA_S8_PiPS5_21rocsparse_index_base_SD_SD_b ; -- Begin function _ZN9rocsparseL39bsrgeam_wf_per_row_multipass_2_3_kernelILj256ELj3ELj32E21rocsparse_complex_numIfEEEv20rocsparse_direction_iiiNS_24const_host_device_scalarIT2_EEPKiS8_PKS5_S6_S8_S8_SA_S8_PiPS5_21rocsparse_index_base_SD_SD_b
	.p2align	8
	.type	_ZN9rocsparseL39bsrgeam_wf_per_row_multipass_2_3_kernelILj256ELj3ELj32E21rocsparse_complex_numIfEEEv20rocsparse_direction_iiiNS_24const_host_device_scalarIT2_EEPKiS8_PKS5_S6_S8_S8_SA_S8_PiPS5_21rocsparse_index_base_SD_SD_b,@function
_ZN9rocsparseL39bsrgeam_wf_per_row_multipass_2_3_kernelILj256ELj3ELj32E21rocsparse_complex_numIfEEEv20rocsparse_direction_iiiNS_24const_host_device_scalarIT2_EEPKiS8_PKS5_S6_S8_S8_SA_S8_PiPS5_21rocsparse_index_base_SD_SD_b: ; @_ZN9rocsparseL39bsrgeam_wf_per_row_multipass_2_3_kernelILj256ELj3ELj32E21rocsparse_complex_numIfEEEv20rocsparse_direction_iiiNS_24const_host_device_scalarIT2_EEPKiS8_PKS5_S6_S8_S8_SA_S8_PiPS5_21rocsparse_index_base_SD_SD_b
; %bb.0:
	s_load_dwordx4 s[8:11], s[0:1], 0x68
	s_load_dwordx2 s[12:13], s[0:1], 0x10
	s_load_dwordx2 s[6:7], s[0:1], 0x30
	s_waitcnt lgkmcnt(0)
	s_bitcmp1_b32 s11, 0
	s_cselect_b64 s[4:5], -1, 0
	s_xor_b64 s[14:15], s[4:5], -1
	s_and_b64 vcc, exec, s[4:5]
	s_mov_b32 s24, s12
	s_cbranch_vccnz .LBB18_2
; %bb.1:
	s_load_dword s24, s[12:13], 0x0
.LBB18_2:
	v_cndmask_b32_e64 v1, 0, 1, s[14:15]
	v_cmp_ne_u32_e64 s[4:5], 1, v1
	s_andn2_b64 vcc, exec, s[14:15]
	s_mov_b32 s25, s13
	s_cbranch_vccz .LBB18_42
; %bb.3:
	s_and_b64 vcc, exec, s[4:5]
	s_mov_b32 s26, s6
	s_cbranch_vccz .LBB18_43
.LBB18_4:
	s_and_b64 vcc, exec, s[4:5]
	s_mov_b32 s27, s7
	s_cbranch_vccnz .LBB18_6
.LBB18_5:
	s_load_dword s27, s[6:7], 0x4
.LBB18_6:
	s_nop 0
	s_load_dwordx4 s[4:7], s[0:1], 0x0
	s_lshl_b32 s2, s2, 3
	v_lshrrev_b32_e32 v1, 5, v0
	s_and_b32 s2, s2, 0x7fffff8
	v_or_b32_e32 v2, s2, v1
	s_waitcnt lgkmcnt(0)
	v_cmp_gt_i32_e32 vcc, s5, v2
	s_and_saveexec_b64 s[2:3], vcc
	s_cbranch_execz .LBB18_41
; %bb.7:
	s_load_dwordx4 s[12:15], s[0:1], 0x18
	s_load_dwordx4 s[16:19], s[0:1], 0x38
	s_load_dwordx2 s[2:3], s[0:1], 0x50
	v_lshlrev_b32_e32 v6, 2, v2
	s_waitcnt lgkmcnt(0)
	global_load_dwordx2 v[2:3], v6, s[12:13]
	global_load_dwordx2 v[4:5], v6, s[16:17]
	global_load_dword v10, v6, s[2:3]
	s_waitcnt vmcnt(2)
	v_subrev_u32_e32 v6, s8, v2
	v_cmp_lt_i32_e32 vcc, v2, v3
	v_mov_b32_e32 v2, s6
	s_and_saveexec_b64 s[2:3], vcc
	s_cbranch_execz .LBB18_9
; %bb.8:
	v_ashrrev_i32_e32 v7, 31, v6
	v_lshl_add_u64 v[8:9], v[6:7], 2, s[14:15]
	global_load_dword v2, v[8:9], off
	s_waitcnt vmcnt(0)
	v_subrev_u32_e32 v2, s8, v2
.LBB18_9:
	s_or_b64 exec, exec, s[2:3]
	s_load_dwordx4 s[20:23], s[0:1], 0x58
	s_load_dwordx2 s[12:13], s[0:1], 0x28
	s_load_dwordx2 s[16:17], s[0:1], 0x48
	s_waitcnt vmcnt(1)
	v_subrev_u32_e32 v8, s9, v4
	v_cmp_lt_i32_e32 vcc, v4, v5
	v_mov_b32_e32 v4, s6
	s_and_saveexec_b64 s[0:1], vcc
	s_cbranch_execz .LBB18_11
; %bb.10:
	v_ashrrev_i32_e32 v9, 31, v8
	v_lshl_add_u64 v[12:13], v[8:9], 2, s[18:19]
	global_load_dword v4, v[12:13], off
	s_waitcnt vmcnt(0)
	v_subrev_u32_e32 v4, s9, v4
.LBB18_11:
	s_or_b64 exec, exec, s[0:1]
	v_subrev_u32_e32 v28, s8, v3
	v_and_b32_e32 v3, 31, v0
	s_movk_i32 s0, 0x900
	v_min_i32_e32 v41, v4, v2
	v_mul_u32_u24_e32 v2, 0x48, v3
	v_mul_u32_u24_e32 v27, 0x900, v1
	v_mad_u32_u24 v31, v1, s0, v2
	v_mbcnt_lo_u32_b32 v1, -1, 0
	v_mbcnt_hi_u32_b32 v1, -1, v1
	v_and_b32_e32 v7, 0xe0, v0
	v_and_b32_e32 v2, 64, v1
	v_bitop3_b32 v0, v0, 31, v0 bitop3:0xc
	v_add_u32_e32 v2, 64, v2
	v_lshrrev_b32_e64 v32, v0, -1
	v_xor_b32_e32 v0, 16, v1
	v_cmp_lt_i32_e32 vcc, v0, v2
	s_cmp_lg_u32 s4, 0
	s_mov_b32 s0, 0
	v_cndmask_b32_e32 v0, v1, v0, vcc
	v_lshlrev_b32_e32 v34, 2, v0
	v_xor_b32_e32 v0, 8, v1
	v_cmp_lt_i32_e32 vcc, v0, v2
	s_cselect_b64 s[2:3], -1, 0
	s_xor_b32 s28, s25, 0x80000000
	v_cndmask_b32_e32 v0, v1, v0, vcc
	v_lshlrev_b32_e32 v35, 2, v0
	v_xor_b32_e32 v0, 4, v1
	v_cmp_lt_i32_e32 vcc, v0, v2
	s_xor_b32 s30, s27, 0x80000000
	v_or_b32_e32 v26, 0x4800, v7
	v_cndmask_b32_e32 v0, v1, v0, vcc
	v_lshlrev_b32_e32 v36, 2, v0
	v_xor_b32_e32 v0, 2, v1
	v_cmp_lt_i32_e32 vcc, v0, v2
	s_waitcnt vmcnt(0)
	v_subrev_u32_e32 v30, s10, v10
	v_mov_b32_e32 v9, 0
	v_cndmask_b32_e32 v0, v1, v0, vcc
	v_lshlrev_b32_e32 v37, 2, v0
	v_xor_b32_e32 v0, 1, v1
	v_cmp_lt_i32_e32 vcc, v0, v2
	s_cmp_eq_u32 s4, 0
	v_add_u32_e32 v33, s10, v3
	v_cndmask_b32_e32 v0, v1, v0, vcc
	v_lshlrev_b32_e32 v38, 2, v0
	s_mov_b32 s1, s0
	s_mov_b32 s10, s0
	;; [unrolled: 1-line block ×3, first 2 shown]
	v_cndmask_b32_e64 v0, 0, 1, s[2:3]
	v_subrev_u32_e32 v29, s9, v5
	v_add_u32_e32 v4, v6, v3
	v_add_u32_e32 v6, v8, v3
	s_movk_i32 s7, 0x48
	s_cselect_b32 s33, 8, 24
	s_cselect_b32 s40, 16, 48
	;; [unrolled: 1-line block ×6, first 2 shown]
	s_mov_b32 s29, s24
	s_mov_b32 s31, s26
	s_mov_b64 s[4:5], 0
	v_add_u32_e32 v39, v26, v3
	v_mov_b64_e32 v[10:11], s[0:1]
	v_mov_b64_e32 v[12:13], s[10:11]
	v_mov_b32_e32 v44, v9
	v_mov_b32_e32 v45, v9
	;; [unrolled: 1-line block ×3, first 2 shown]
	v_cmp_ne_u32_e64 s[0:1], 1, v0
	s_branch .LBB18_13
.LBB18_12:                              ;   in Loop: Header=BB18_13 Depth=1
	s_or_b64 exec, exec, s[10:11]
	ds_bpermute_b32 v0, v34, v42
	s_bcnt1_i32_b64 s2, vcc
	v_add_u32_e32 v30, s2, v30
	s_waitcnt lgkmcnt(0)
	v_min_i32_e32 v0, v0, v42
	ds_bpermute_b32 v1, v35, v0
	s_waitcnt lgkmcnt(0)
	v_min_i32_e32 v0, v1, v0
	ds_bpermute_b32 v1, v36, v0
	;; [unrolled: 3-line block ×4, first 2 shown]
	s_waitcnt lgkmcnt(0)
	v_min_i32_e32 v41, v1, v0
	v_cmp_le_i32_e32 vcc, s6, v41
	s_or_b64 s[4:5], vcc, s[4:5]
	s_andn2_b64 exec, exec, s[4:5]
	s_cbranch_execz .LBB18_41
.LBB18_13:                              ; =>This Loop Header: Depth=1
                                        ;     Child Loop BB18_16 Depth 2
                                        ;     Child Loop BB18_29 Depth 2
	v_cmp_lt_i32_e32 vcc, v4, v28
	v_mov_b32_e32 v42, s6
	ds_write_b8 v39, v9
	ds_write2_b64 v31, v[10:11], v[12:13] offset1:1
	ds_write2_b64 v31, v[10:11], v[12:13] offset0:2 offset1:3
	ds_write2_b64 v31, v[10:11], v[12:13] offset0:4 offset1:5
	ds_write2_b64 v31, v[10:11], v[12:13] offset0:6 offset1:7
	ds_write_b64 v31, v[44:45] offset:64
	s_waitcnt lgkmcnt(0)
	s_and_saveexec_b64 s[10:11], vcc
	s_cbranch_execz .LBB18_26
; %bb.14:                               ;   in Loop: Header=BB18_13 Depth=1
	v_mad_u64_u32 v[0:1], s[2:3], v4, 9, 8
	s_mov_b64 s[34:35], 0
	v_mov_b32_e32 v42, s6
	s_branch .LBB18_16
.LBB18_15:                              ;   in Loop: Header=BB18_16 Depth=2
	s_or_b64 exec, exec, s[38:39]
	s_and_b64 s[2:3], exec, s[36:37]
	s_or_b64 s[34:35], s[2:3], s[34:35]
	s_andn2_b64 exec, exec, s[34:35]
	s_cbranch_execz .LBB18_25
.LBB18_16:                              ;   Parent Loop BB18_13 Depth=1
                                        ; =>  This Inner Loop Header: Depth=2
	v_ashrrev_i32_e32 v5, 31, v4
	v_lshl_add_u64 v[2:3], v[4:5], 2, s[14:15]
	global_load_dword v1, v[2:3], off
	s_waitcnt vmcnt(0)
	v_subrev_u32_e32 v2, s8, v1
	v_sub_u32_e32 v1, v2, v41
	v_cmp_gt_u32_e64 s[2:3], 32, v1
	v_cmp_lt_u32_e32 vcc, 31, v1
	s_and_saveexec_b64 s[36:37], vcc
	s_xor_b64 s[36:37], exec, s[36:37]
; %bb.17:                               ;   in Loop: Header=BB18_16 Depth=2
	v_min_i32_e32 v42, v2, v42
                                        ; implicit-def: $vgpr1
; %bb.18:                               ;   in Loop: Header=BB18_16 Depth=2
	s_andn2_saveexec_b64 s[36:37], s[36:37]
	s_cbranch_execz .LBB18_23
; %bb.19:                               ;   in Loop: Header=BB18_16 Depth=2
	v_add_u32_e32 v8, -8, v0
	v_lshl_add_u64 v[2:3], v[8:9], 3, s[12:13]
	global_load_dwordx2 v[16:17], v[2:3], off
	v_add_u32_e32 v3, v26, v1
	v_mul_lo_u32 v1, v1, s7
	v_add_u32_e32 v5, v27, v1
	s_mov_b64 s[38:39], -1
	s_and_b64 vcc, exec, s[0:1]
	v_add_u32_e32 v14, -2, v0
	v_add_u32_e32 v22, -7, v0
	v_add_u32_e32 v18, -4, v0
	v_add_u32_e32 v2, -1, v0
	v_add_u32_e32 v20, -6, v0
	v_add_u32_e32 v8, -5, v0
	ds_write_b8 v3, v40
	s_waitcnt vmcnt(0)
	v_pk_mul_f32 v[24:25], v[16:17], s[28:29] op_sel:[1,0]
	s_nop 0
	v_pk_fma_f32 v[16:17], s[24:25], v[16:17], v[24:25] op_sel_hi:[1,0,1]
	ds_write_b64 v5, v[16:17]
	v_add_u32_e32 v16, -3, v0
	s_cbranch_vccnz .LBB18_21
; %bb.20:                               ;   in Loop: Header=BB18_16 Depth=2
	v_lshl_add_u64 v[24:25], v[8:9], 3, s[12:13]
	v_mov_b32_e32 v15, v9
	v_mov_b32_e32 v23, v9
	;; [unrolled: 1-line block ×4, first 2 shown]
	v_lshl_add_u64 v[46:47], v[14:15], 3, s[12:13]
	v_lshl_add_u64 v[48:49], v[22:23], 3, s[12:13]
	v_lshl_add_u64 v[50:51], v[18:19], 3, s[12:13]
	global_load_dwordx2 v[52:53], v[24:25], off
	global_load_dwordx2 v[54:55], v[46:47], off
	;; [unrolled: 1-line block ×4, first 2 shown]
	v_lshl_add_u64 v[24:25], v[2:3], 3, s[12:13]
	v_mov_b32_e32 v21, v9
	v_mov_b32_e32 v17, v9
	;; [unrolled: 1-line block ×3, first 2 shown]
	v_lshl_add_u64 v[46:47], v[20:21], 3, s[12:13]
	v_lshl_add_u64 v[48:49], v[16:17], 3, s[12:13]
	;; [unrolled: 1-line block ×3, first 2 shown]
	global_load_dwordx2 v[60:61], v[24:25], off
	global_load_dwordx2 v[62:63], v[46:47], off
	;; [unrolled: 1-line block ×4, first 2 shown]
	s_mov_b64 s[38:39], 0
	s_waitcnt vmcnt(7)
	v_pk_mul_f32 v[24:25], v[52:53], s[28:29] op_sel:[1,0]
	s_waitcnt vmcnt(6)
	v_pk_mul_f32 v[46:47], v[54:55], s[28:29] op_sel:[1,0]
	v_pk_fma_f32 v[24:25], s[24:25], v[52:53], v[24:25] op_sel_hi:[1,0,1]
	s_waitcnt vmcnt(5)
	v_pk_mul_f32 v[48:49], v[56:57], s[28:29] op_sel:[1,0]
	s_waitcnt vmcnt(4)
	v_pk_mul_f32 v[50:51], v[58:59], s[28:29] op_sel:[1,0]
	v_pk_fma_f32 v[46:47], s[24:25], v[54:55], v[46:47] op_sel_hi:[1,0,1]
	v_pk_fma_f32 v[48:49], s[24:25], v[56:57], v[48:49] op_sel_hi:[1,0,1]
	;; [unrolled: 1-line block ×3, first 2 shown]
	s_waitcnt vmcnt(3)
	v_pk_mul_f32 v[52:53], v[60:61], s[28:29] op_sel:[1,0]
	s_waitcnt vmcnt(2)
	v_pk_mul_f32 v[68:69], v[62:63], s[28:29] op_sel:[1,0]
	;; [unrolled: 2-line block ×4, first 2 shown]
	v_pk_fma_f32 v[52:53], s[24:25], v[60:61], v[52:53] op_sel_hi:[1,0,1]
	v_pk_fma_f32 v[54:55], s[24:25], v[62:63], v[68:69] op_sel_hi:[1,0,1]
	;; [unrolled: 1-line block ×4, first 2 shown]
	ds_write2_b64 v5, v[24:25], v[46:47] offset0:1 offset1:2
	ds_write2_b64 v5, v[48:49], v[50:51] offset0:3 offset1:4
	;; [unrolled: 1-line block ×4, first 2 shown]
.LBB18_21:                              ;   in Loop: Header=BB18_16 Depth=2
	s_andn2_b64 vcc, exec, s[38:39]
	s_cbranch_vccnz .LBB18_23
; %bb.22:                               ;   in Loop: Header=BB18_16 Depth=2
	v_mov_b32_e32 v23, v9
	v_mov_b32_e32 v21, v9
	;; [unrolled: 1-line block ×4, first 2 shown]
	v_lshl_add_u64 v[22:23], v[22:23], 3, s[12:13]
	v_lshl_add_u64 v[20:21], v[20:21], 3, s[12:13]
	;; [unrolled: 1-line block ×5, first 2 shown]
	v_mov_b32_e32 v15, v9
	v_mov_b32_e32 v3, v9
	;; [unrolled: 1-line block ×3, first 2 shown]
	global_load_dwordx2 v[46:47], v[22:23], off
	global_load_dwordx2 v[48:49], v[20:21], off
	;; [unrolled: 1-line block ×4, first 2 shown]
	v_lshl_add_u64 v[14:15], v[14:15], 3, s[12:13]
	v_lshl_add_u64 v[2:3], v[2:3], 3, s[12:13]
	;; [unrolled: 1-line block ×3, first 2 shown]
	global_load_dwordx2 v[20:21], v[16:17], off
	global_load_dwordx2 v[22:23], v[14:15], off
	;; [unrolled: 1-line block ×4, first 2 shown]
	s_waitcnt vmcnt(7)
	v_pk_mul_f32 v[2:3], v[46:47], s[28:29] op_sel:[1,0]
	s_waitcnt vmcnt(6)
	v_pk_mul_f32 v[14:15], v[48:49], s[28:29] op_sel:[1,0]
	;; [unrolled: 2-line block ×8, first 2 shown]
	v_pk_fma_f32 v[2:3], s[24:25], v[46:47], v[2:3] op_sel_hi:[1,0,1]
	v_pk_fma_f32 v[14:15], s[24:25], v[48:49], v[14:15] op_sel_hi:[1,0,1]
	;; [unrolled: 1-line block ×8, first 2 shown]
	ds_write2_b64 v5, v[2:3], v[14:15] offset0:1 offset1:2
	ds_write2_b64 v5, v[16:17], v[18:19] offset0:3 offset1:4
	;; [unrolled: 1-line block ×4, first 2 shown]
.LBB18_23:                              ;   in Loop: Header=BB18_16 Depth=2
	s_or_b64 exec, exec, s[36:37]
	s_mov_b64 s[36:37], -1
	s_and_saveexec_b64 s[38:39], s[2:3]
	s_cbranch_execz .LBB18_15
; %bb.24:                               ;   in Loop: Header=BB18_16 Depth=2
	v_add_u32_e32 v4, 32, v4
	v_cmp_ge_i32_e32 vcc, v4, v28
	v_add_u32_e32 v0, 0x120, v0
	s_orn2_b64 s[36:37], vcc, exec
	s_branch .LBB18_15
.LBB18_25:                              ;   in Loop: Header=BB18_13 Depth=1
	s_or_b64 exec, exec, s[34:35]
.LBB18_26:                              ;   in Loop: Header=BB18_13 Depth=1
	s_or_b64 exec, exec, s[10:11]
	v_cmp_lt_i32_e32 vcc, v6, v29
	s_waitcnt lgkmcnt(0)
	s_and_saveexec_b64 s[10:11], vcc
	s_cbranch_execz .LBB18_39
; %bb.27:                               ;   in Loop: Header=BB18_13 Depth=1
	v_mad_u64_u32 v[14:15], s[2:3], v6, 9, 8
	s_mov_b64 s[34:35], 0
	s_branch .LBB18_29
.LBB18_28:                              ;   in Loop: Header=BB18_29 Depth=2
	s_or_b64 exec, exec, s[38:39]
	s_and_b64 s[2:3], exec, s[36:37]
	s_or_b64 s[34:35], s[2:3], s[34:35]
	s_andn2_b64 exec, exec, s[34:35]
	s_cbranch_execz .LBB18_38
.LBB18_29:                              ;   Parent Loop BB18_13 Depth=1
                                        ; =>  This Inner Loop Header: Depth=2
	v_ashrrev_i32_e32 v7, 31, v6
	v_lshl_add_u64 v[0:1], v[6:7], 2, s[18:19]
	global_load_dword v0, v[0:1], off
	s_waitcnt vmcnt(0)
	v_subrev_u32_e32 v1, s9, v0
	v_sub_u32_e32 v0, v1, v41
	v_cmp_gt_u32_e64 s[2:3], 32, v0
	v_cmp_lt_u32_e32 vcc, 31, v0
	s_and_saveexec_b64 s[36:37], vcc
	s_xor_b64 s[36:37], exec, s[36:37]
; %bb.30:                               ;   in Loop: Header=BB18_29 Depth=2
	v_min_i32_e32 v42, v1, v42
                                        ; implicit-def: $vgpr0
; %bb.31:                               ;   in Loop: Header=BB18_29 Depth=2
	s_andn2_saveexec_b64 s[36:37], s[36:37]
	s_cbranch_execz .LBB18_36
; %bb.32:                               ;   in Loop: Header=BB18_29 Depth=2
	v_add_u32_e32 v8, -8, v14
	v_lshl_add_u64 v[2:3], v[8:9], 3, s[16:17]
	global_load_dwordx2 v[46:47], v[2:3], off
	v_add_u32_e32 v7, v26, v0
	v_mul_lo_u32 v0, v0, s7
	v_add_u32_e32 v5, v27, v0
	ds_read2_b64 v[0:3], v5 offset1:1
	s_mov_b64 s[38:39], -1
	s_and_b64 vcc, exec, s[0:1]
	v_add_u32_e32 v18, -2, v14
	v_add_u32_e32 v24, -7, v14
	;; [unrolled: 1-line block ×6, first 2 shown]
	ds_write_b8 v7, v40
	s_waitcnt vmcnt(0) lgkmcnt(1)
	v_pk_fma_f32 v[0:1], s[26:27], v[46:47], v[0:1] op_sel_hi:[1,0,1]
	s_nop 0
	v_pk_fma_f32 v[0:1], s[30:31], v[46:47], v[0:1] op_sel:[0,1,0]
	ds_write_b64 v5, v[0:1]
	v_add_u32_e32 v0, -3, v14
	s_cbranch_vccnz .LBB18_34
; %bb.33:                               ;   in Loop: Header=BB18_29 Depth=2
	v_lshl_add_u64 v[46:47], v[8:9], 3, s[16:17]
	v_mov_b32_e32 v19, v9
	v_mov_b32_e32 v25, v9
	;; [unrolled: 1-line block ×4, first 2 shown]
	v_lshl_add_u64 v[48:49], v[18:19], 3, s[16:17]
	v_lshl_add_u64 v[50:51], v[24:25], 3, s[16:17]
	;; [unrolled: 1-line block ×3, first 2 shown]
	global_load_dwordx2 v[58:59], v[46:47], off
	global_load_dwordx2 v[60:61], v[48:49], off
	global_load_dwordx2 v[62:63], v[50:51], off
	global_load_dwordx2 v[64:65], v[52:53], off
	v_lshl_add_u64 v[46:47], v[16:17], 3, s[16:17]
	v_mov_b32_e32 v23, v9
	v_mov_b32_e32 v1, v9
	;; [unrolled: 1-line block ×3, first 2 shown]
	v_lshl_add_u64 v[48:49], v[22:23], 3, s[16:17]
	v_lshl_add_u64 v[50:51], v[0:1], 3, s[16:17]
	v_lshl_add_u64 v[52:53], v[14:15], 3, s[16:17]
	global_load_dwordx2 v[66:67], v[46:47], off
	global_load_dwordx2 v[68:69], v[48:49], off
	;; [unrolled: 1-line block ×4, first 2 shown]
	ds_read2_b64 v[46:49], v5 offset0:2 offset1:3
	ds_read2_b64 v[50:53], v5 offset0:4 offset1:5
	;; [unrolled: 1-line block ×3, first 2 shown]
	ds_read_b64 v[74:75], v5 offset:64
	s_mov_b64 s[38:39], 0
	s_waitcnt vmcnt(7)
	v_pk_fma_f32 v[76:77], s[26:27], v[58:59], v[2:3] op_sel_hi:[1,0,1]
	s_waitcnt vmcnt(6) lgkmcnt(3)
	v_pk_fma_f32 v[46:47], s[26:27], v[60:61], v[46:47] op_sel_hi:[1,0,1]
	v_pk_fma_f32 v[58:59], s[30:31], v[58:59], v[76:77] op_sel:[0,1,0]
	s_waitcnt vmcnt(5)
	v_pk_fma_f32 v[48:49], s[26:27], v[62:63], v[48:49] op_sel_hi:[1,0,1]
	s_waitcnt vmcnt(4) lgkmcnt(2)
	v_pk_fma_f32 v[50:51], s[26:27], v[64:65], v[50:51] op_sel_hi:[1,0,1]
	v_pk_fma_f32 v[46:47], s[30:31], v[60:61], v[46:47] op_sel:[0,1,0]
	v_pk_fma_f32 v[48:49], s[30:31], v[62:63], v[48:49] op_sel:[0,1,0]
	;; [unrolled: 1-line block ×3, first 2 shown]
	s_waitcnt vmcnt(3)
	v_pk_fma_f32 v[52:53], s[26:27], v[66:67], v[52:53] op_sel_hi:[1,0,1]
	s_waitcnt vmcnt(2) lgkmcnt(1)
	v_pk_fma_f32 v[54:55], s[26:27], v[68:69], v[54:55] op_sel_hi:[1,0,1]
	s_waitcnt vmcnt(1)
	v_pk_fma_f32 v[56:57], s[26:27], v[70:71], v[56:57] op_sel_hi:[1,0,1]
	s_waitcnt vmcnt(0) lgkmcnt(0)
	v_pk_fma_f32 v[74:75], s[26:27], v[72:73], v[74:75] op_sel_hi:[1,0,1]
	v_pk_fma_f32 v[52:53], s[30:31], v[66:67], v[52:53] op_sel:[0,1,0]
	v_pk_fma_f32 v[54:55], s[30:31], v[68:69], v[54:55] op_sel:[0,1,0]
	;; [unrolled: 1-line block ×4, first 2 shown]
	ds_write2_b64 v5, v[58:59], v[46:47] offset0:1 offset1:2
	ds_write2_b64 v5, v[48:49], v[50:51] offset0:3 offset1:4
	;; [unrolled: 1-line block ×4, first 2 shown]
.LBB18_34:                              ;   in Loop: Header=BB18_29 Depth=2
	s_andn2_b64 vcc, exec, s[38:39]
	s_cbranch_vccnz .LBB18_36
; %bb.35:                               ;   in Loop: Header=BB18_29 Depth=2
	v_mov_b32_e32 v25, v9
	v_mov_b32_e32 v21, v9
	;; [unrolled: 1-line block ×3, first 2 shown]
	v_lshl_add_u64 v[24:25], v[24:25], 3, s[16:17]
	v_mov_b32_e32 v23, v9
	v_lshl_add_u64 v[20:21], v[20:21], 3, s[16:17]
	v_lshl_add_u64 v[0:1], v[0:1], 3, s[16:17]
	v_mov_b32_e32 v19, v9
	v_mov_b32_e32 v17, v9
	;; [unrolled: 1-line block ×3, first 2 shown]
	v_lshl_add_u64 v[22:23], v[22:23], 3, s[16:17]
	v_lshl_add_u64 v[46:47], v[8:9], 3, s[16:17]
	global_load_dwordx2 v[50:51], v[24:25], off
	global_load_dwordx2 v[52:53], v[22:23], off
	;; [unrolled: 1-line block ×4, first 2 shown]
	v_lshl_add_u64 v[18:19], v[18:19], 3, s[16:17]
	v_lshl_add_u64 v[16:17], v[16:17], 3, s[16:17]
	;; [unrolled: 1-line block ×3, first 2 shown]
	global_load_dwordx2 v[24:25], v[0:1], off
	global_load_dwordx2 v[58:59], v[18:19], off
	;; [unrolled: 1-line block ×4, first 2 shown]
	ds_read2_b64 v[16:19], v5 offset0:2 offset1:3
	ds_read2_b64 v[20:23], v5 offset0:4 offset1:5
	;; [unrolled: 1-line block ×3, first 2 shown]
	ds_read_b64 v[0:1], v5 offset:64
	s_waitcnt vmcnt(7)
	v_pk_fma_f32 v[2:3], s[26:27], v[50:51], v[2:3] op_sel_hi:[1,0,1]
	s_waitcnt vmcnt(6) lgkmcnt(3)
	v_pk_fma_f32 v[16:17], s[26:27], v[52:53], v[16:17] op_sel_hi:[1,0,1]
	s_waitcnt vmcnt(5)
	v_pk_fma_f32 v[18:19], s[26:27], v[54:55], v[18:19] op_sel_hi:[1,0,1]
	s_waitcnt vmcnt(4) lgkmcnt(2)
	v_pk_fma_f32 v[20:21], s[26:27], v[56:57], v[20:21] op_sel_hi:[1,0,1]
	s_waitcnt vmcnt(3)
	v_pk_fma_f32 v[22:23], s[26:27], v[24:25], v[22:23] op_sel_hi:[1,0,1]
	s_waitcnt vmcnt(2) lgkmcnt(1)
	v_pk_fma_f32 v[46:47], s[26:27], v[58:59], v[46:47] op_sel_hi:[1,0,1]
	s_waitcnt vmcnt(1)
	v_pk_fma_f32 v[48:49], s[26:27], v[60:61], v[48:49] op_sel_hi:[1,0,1]
	s_waitcnt vmcnt(0) lgkmcnt(0)
	v_pk_fma_f32 v[0:1], s[26:27], v[62:63], v[0:1] op_sel_hi:[1,0,1]
	v_pk_fma_f32 v[2:3], s[30:31], v[50:51], v[2:3] op_sel:[0,1,0]
	v_pk_fma_f32 v[16:17], s[30:31], v[52:53], v[16:17] op_sel:[0,1,0]
	;; [unrolled: 1-line block ×8, first 2 shown]
	ds_write2_b64 v5, v[2:3], v[16:17] offset0:1 offset1:2
	ds_write2_b64 v5, v[18:19], v[20:21] offset0:3 offset1:4
	;; [unrolled: 1-line block ×4, first 2 shown]
.LBB18_36:                              ;   in Loop: Header=BB18_29 Depth=2
	s_or_b64 exec, exec, s[36:37]
	s_mov_b64 s[36:37], -1
	s_and_saveexec_b64 s[38:39], s[2:3]
	s_cbranch_execz .LBB18_28
; %bb.37:                               ;   in Loop: Header=BB18_29 Depth=2
	v_add_u32_e32 v6, 32, v6
	v_cmp_ge_i32_e32 vcc, v6, v29
	v_add_u32_e32 v14, 0x120, v14
	s_orn2_b64 s[36:37], vcc, exec
	s_branch .LBB18_28
.LBB18_38:                              ;   in Loop: Header=BB18_13 Depth=1
	s_or_b64 exec, exec, s[34:35]
.LBB18_39:                              ;   in Loop: Header=BB18_13 Depth=1
	s_or_b64 exec, exec, s[10:11]
	s_waitcnt lgkmcnt(0)
	ds_read_u8 v0, v39
	s_waitcnt lgkmcnt(0)
	v_and_b32_e32 v1, 1, v0
	v_cmp_eq_u32_e64 s[2:3], 1, v1
	v_cmp_ne_u16_e32 vcc, 0, v0
	s_and_saveexec_b64 s[10:11], s[2:3]
	s_cbranch_execz .LBB18_12
; %bb.40:                               ;   in Loop: Header=BB18_13 Depth=1
	v_and_b32_e32 v0, vcc_lo, v32
	v_bcnt_u32_b32 v0, v0, 0
	v_add3_u32 v14, v30, v0, -1
	ds_read2_b64 v[0:3], v31 offset1:4
	v_ashrrev_i32_e32 v15, 31, v14
	v_lshl_add_u32 v8, v14, 3, v14
	v_add_u32_e32 v5, v33, v41
	v_lshl_add_u64 v[16:17], v[14:15], 2, s[20:21]
	v_lshl_add_u64 v[14:15], v[8:9], 3, s[22:23]
	global_store_dword v[16:17], v5, off
	s_waitcnt lgkmcnt(0)
	global_store_dwordx2 v[14:15], v[0:1], off
	v_add_u32_e32 v5, s33, v31
	v_add_u32_e32 v7, s40, v31
	ds_read_b64 v[48:49], v5
	ds_read_b64 v[50:51], v7
	v_add_u32_e32 v0, 1, v8
	v_mov_b32_e32 v1, v9
	v_lshl_add_u64 v[0:1], v[0:1], 3, s[22:23]
	v_add_u32_e32 v14, 2, v8
	v_mov_b32_e32 v15, v9
	v_add_u32_e32 v5, s41, v31
	v_lshl_add_u64 v[14:15], v[14:15], 3, s[22:23]
	ds_read_b64 v[52:53], v5
	ds_read_b64 v[54:55], v31 offset:64
	s_waitcnt lgkmcnt(3)
	global_store_dwordx2 v[0:1], v[48:49], off
	s_waitcnt lgkmcnt(2)
	global_store_dwordx2 v[14:15], v[50:51], off
	v_add_u32_e32 v0, s42, v31
	v_add_u32_e32 v5, s43, v31
	;; [unrolled: 1-line block ×3, first 2 shown]
	ds_read_b64 v[0:1], v0
	ds_read_b64 v[14:15], v5
	;; [unrolled: 1-line block ×3, first 2 shown]
	v_add_u32_e32 v16, 3, v8
	v_mov_b32_e32 v17, v9
	v_lshl_add_u64 v[16:17], v[16:17], 3, s[22:23]
	v_add_u32_e32 v18, 4, v8
	v_mov_b32_e32 v19, v9
	v_add_u32_e32 v20, 5, v8
	v_mov_b32_e32 v21, v9
	;; [unrolled: 2-line block ×4, first 2 shown]
	v_add_u32_e32 v8, 8, v8
	v_lshl_add_u64 v[18:19], v[18:19], 3, s[22:23]
	v_lshl_add_u64 v[20:21], v[20:21], 3, s[22:23]
	;; [unrolled: 1-line block ×5, first 2 shown]
	s_waitcnt lgkmcnt(4)
	global_store_dwordx2 v[16:17], v[52:53], off
	global_store_dwordx2 v[18:19], v[2:3], off
	s_waitcnt lgkmcnt(2)
	global_store_dwordx2 v[20:21], v[0:1], off
	s_waitcnt lgkmcnt(1)
	;; [unrolled: 2-line block ×3, first 2 shown]
	global_store_dwordx2 v[24:25], v[48:49], off
	global_store_dwordx2 v[46:47], v[54:55], off
	s_branch .LBB18_12
.LBB18_41:
	s_endpgm
.LBB18_42:
	s_load_dword s25, s[12:13], 0x4
	s_and_b64 vcc, exec, s[4:5]
	s_mov_b32 s26, s6
	s_cbranch_vccnz .LBB18_4
.LBB18_43:
	s_load_dword s26, s[6:7], 0x0
	s_and_b64 vcc, exec, s[4:5]
	s_mov_b32 s27, s7
	s_cbranch_vccz .LBB18_5
	s_branch .LBB18_6
	.section	.rodata,"a",@progbits
	.p2align	6, 0x0
	.amdhsa_kernel _ZN9rocsparseL39bsrgeam_wf_per_row_multipass_2_3_kernelILj256ELj3ELj32E21rocsparse_complex_numIfEEEv20rocsparse_direction_iiiNS_24const_host_device_scalarIT2_EEPKiS8_PKS5_S6_S8_S8_SA_S8_PiPS5_21rocsparse_index_base_SD_SD_b
		.amdhsa_group_segment_fixed_size 18688
		.amdhsa_private_segment_fixed_size 0
		.amdhsa_kernarg_size 120
		.amdhsa_user_sgpr_count 2
		.amdhsa_user_sgpr_dispatch_ptr 0
		.amdhsa_user_sgpr_queue_ptr 0
		.amdhsa_user_sgpr_kernarg_segment_ptr 1
		.amdhsa_user_sgpr_dispatch_id 0
		.amdhsa_user_sgpr_kernarg_preload_length 0
		.amdhsa_user_sgpr_kernarg_preload_offset 0
		.amdhsa_user_sgpr_private_segment_size 0
		.amdhsa_uses_dynamic_stack 0
		.amdhsa_enable_private_segment 0
		.amdhsa_system_sgpr_workgroup_id_x 1
		.amdhsa_system_sgpr_workgroup_id_y 0
		.amdhsa_system_sgpr_workgroup_id_z 0
		.amdhsa_system_sgpr_workgroup_info 0
		.amdhsa_system_vgpr_workitem_id 0
		.amdhsa_next_free_vgpr 78
		.amdhsa_next_free_sgpr 45
		.amdhsa_accum_offset 80
		.amdhsa_reserve_vcc 1
		.amdhsa_float_round_mode_32 0
		.amdhsa_float_round_mode_16_64 0
		.amdhsa_float_denorm_mode_32 3
		.amdhsa_float_denorm_mode_16_64 3
		.amdhsa_dx10_clamp 1
		.amdhsa_ieee_mode 1
		.amdhsa_fp16_overflow 0
		.amdhsa_tg_split 0
		.amdhsa_exception_fp_ieee_invalid_op 0
		.amdhsa_exception_fp_denorm_src 0
		.amdhsa_exception_fp_ieee_div_zero 0
		.amdhsa_exception_fp_ieee_overflow 0
		.amdhsa_exception_fp_ieee_underflow 0
		.amdhsa_exception_fp_ieee_inexact 0
		.amdhsa_exception_int_div_zero 0
	.end_amdhsa_kernel
	.section	.text._ZN9rocsparseL39bsrgeam_wf_per_row_multipass_2_3_kernelILj256ELj3ELj32E21rocsparse_complex_numIfEEEv20rocsparse_direction_iiiNS_24const_host_device_scalarIT2_EEPKiS8_PKS5_S6_S8_S8_SA_S8_PiPS5_21rocsparse_index_base_SD_SD_b,"axG",@progbits,_ZN9rocsparseL39bsrgeam_wf_per_row_multipass_2_3_kernelILj256ELj3ELj32E21rocsparse_complex_numIfEEEv20rocsparse_direction_iiiNS_24const_host_device_scalarIT2_EEPKiS8_PKS5_S6_S8_S8_SA_S8_PiPS5_21rocsparse_index_base_SD_SD_b,comdat
.Lfunc_end18:
	.size	_ZN9rocsparseL39bsrgeam_wf_per_row_multipass_2_3_kernelILj256ELj3ELj32E21rocsparse_complex_numIfEEEv20rocsparse_direction_iiiNS_24const_host_device_scalarIT2_EEPKiS8_PKS5_S6_S8_S8_SA_S8_PiPS5_21rocsparse_index_base_SD_SD_b, .Lfunc_end18-_ZN9rocsparseL39bsrgeam_wf_per_row_multipass_2_3_kernelILj256ELj3ELj32E21rocsparse_complex_numIfEEEv20rocsparse_direction_iiiNS_24const_host_device_scalarIT2_EEPKiS8_PKS5_S6_S8_S8_SA_S8_PiPS5_21rocsparse_index_base_SD_SD_b
                                        ; -- End function
	.set _ZN9rocsparseL39bsrgeam_wf_per_row_multipass_2_3_kernelILj256ELj3ELj32E21rocsparse_complex_numIfEEEv20rocsparse_direction_iiiNS_24const_host_device_scalarIT2_EEPKiS8_PKS5_S6_S8_S8_SA_S8_PiPS5_21rocsparse_index_base_SD_SD_b.num_vgpr, 78
	.set _ZN9rocsparseL39bsrgeam_wf_per_row_multipass_2_3_kernelILj256ELj3ELj32E21rocsparse_complex_numIfEEEv20rocsparse_direction_iiiNS_24const_host_device_scalarIT2_EEPKiS8_PKS5_S6_S8_S8_SA_S8_PiPS5_21rocsparse_index_base_SD_SD_b.num_agpr, 0
	.set _ZN9rocsparseL39bsrgeam_wf_per_row_multipass_2_3_kernelILj256ELj3ELj32E21rocsparse_complex_numIfEEEv20rocsparse_direction_iiiNS_24const_host_device_scalarIT2_EEPKiS8_PKS5_S6_S8_S8_SA_S8_PiPS5_21rocsparse_index_base_SD_SD_b.numbered_sgpr, 45
	.set _ZN9rocsparseL39bsrgeam_wf_per_row_multipass_2_3_kernelILj256ELj3ELj32E21rocsparse_complex_numIfEEEv20rocsparse_direction_iiiNS_24const_host_device_scalarIT2_EEPKiS8_PKS5_S6_S8_S8_SA_S8_PiPS5_21rocsparse_index_base_SD_SD_b.num_named_barrier, 0
	.set _ZN9rocsparseL39bsrgeam_wf_per_row_multipass_2_3_kernelILj256ELj3ELj32E21rocsparse_complex_numIfEEEv20rocsparse_direction_iiiNS_24const_host_device_scalarIT2_EEPKiS8_PKS5_S6_S8_S8_SA_S8_PiPS5_21rocsparse_index_base_SD_SD_b.private_seg_size, 0
	.set _ZN9rocsparseL39bsrgeam_wf_per_row_multipass_2_3_kernelILj256ELj3ELj32E21rocsparse_complex_numIfEEEv20rocsparse_direction_iiiNS_24const_host_device_scalarIT2_EEPKiS8_PKS5_S6_S8_S8_SA_S8_PiPS5_21rocsparse_index_base_SD_SD_b.uses_vcc, 1
	.set _ZN9rocsparseL39bsrgeam_wf_per_row_multipass_2_3_kernelILj256ELj3ELj32E21rocsparse_complex_numIfEEEv20rocsparse_direction_iiiNS_24const_host_device_scalarIT2_EEPKiS8_PKS5_S6_S8_S8_SA_S8_PiPS5_21rocsparse_index_base_SD_SD_b.uses_flat_scratch, 0
	.set _ZN9rocsparseL39bsrgeam_wf_per_row_multipass_2_3_kernelILj256ELj3ELj32E21rocsparse_complex_numIfEEEv20rocsparse_direction_iiiNS_24const_host_device_scalarIT2_EEPKiS8_PKS5_S6_S8_S8_SA_S8_PiPS5_21rocsparse_index_base_SD_SD_b.has_dyn_sized_stack, 0
	.set _ZN9rocsparseL39bsrgeam_wf_per_row_multipass_2_3_kernelILj256ELj3ELj32E21rocsparse_complex_numIfEEEv20rocsparse_direction_iiiNS_24const_host_device_scalarIT2_EEPKiS8_PKS5_S6_S8_S8_SA_S8_PiPS5_21rocsparse_index_base_SD_SD_b.has_recursion, 0
	.set _ZN9rocsparseL39bsrgeam_wf_per_row_multipass_2_3_kernelILj256ELj3ELj32E21rocsparse_complex_numIfEEEv20rocsparse_direction_iiiNS_24const_host_device_scalarIT2_EEPKiS8_PKS5_S6_S8_S8_SA_S8_PiPS5_21rocsparse_index_base_SD_SD_b.has_indirect_call, 0
	.section	.AMDGPU.csdata,"",@progbits
; Kernel info:
; codeLenInByte = 3368
; TotalNumSgprs: 51
; NumVgprs: 78
; NumAgprs: 0
; TotalNumVgprs: 78
; ScratchSize: 0
; MemoryBound: 0
; FloatMode: 240
; IeeeMode: 1
; LDSByteSize: 18688 bytes/workgroup (compile time only)
; SGPRBlocks: 6
; VGPRBlocks: 9
; NumSGPRsForWavesPerEU: 51
; NumVGPRsForWavesPerEU: 78
; AccumOffset: 80
; Occupancy: 6
; WaveLimiterHint : 1
; COMPUTE_PGM_RSRC2:SCRATCH_EN: 0
; COMPUTE_PGM_RSRC2:USER_SGPR: 2
; COMPUTE_PGM_RSRC2:TRAP_HANDLER: 0
; COMPUTE_PGM_RSRC2:TGID_X_EN: 1
; COMPUTE_PGM_RSRC2:TGID_Y_EN: 0
; COMPUTE_PGM_RSRC2:TGID_Z_EN: 0
; COMPUTE_PGM_RSRC2:TIDIG_COMP_CNT: 0
; COMPUTE_PGM_RSRC3_GFX90A:ACCUM_OFFSET: 19
; COMPUTE_PGM_RSRC3_GFX90A:TG_SPLIT: 0
	.section	.text._ZN9rocsparseL39bsrgeam_wf_per_row_multipass_2_3_kernelILj256ELj3ELj64E21rocsparse_complex_numIfEEEv20rocsparse_direction_iiiNS_24const_host_device_scalarIT2_EEPKiS8_PKS5_S6_S8_S8_SA_S8_PiPS5_21rocsparse_index_base_SD_SD_b,"axG",@progbits,_ZN9rocsparseL39bsrgeam_wf_per_row_multipass_2_3_kernelILj256ELj3ELj64E21rocsparse_complex_numIfEEEv20rocsparse_direction_iiiNS_24const_host_device_scalarIT2_EEPKiS8_PKS5_S6_S8_S8_SA_S8_PiPS5_21rocsparse_index_base_SD_SD_b,comdat
	.globl	_ZN9rocsparseL39bsrgeam_wf_per_row_multipass_2_3_kernelILj256ELj3ELj64E21rocsparse_complex_numIfEEEv20rocsparse_direction_iiiNS_24const_host_device_scalarIT2_EEPKiS8_PKS5_S6_S8_S8_SA_S8_PiPS5_21rocsparse_index_base_SD_SD_b ; -- Begin function _ZN9rocsparseL39bsrgeam_wf_per_row_multipass_2_3_kernelILj256ELj3ELj64E21rocsparse_complex_numIfEEEv20rocsparse_direction_iiiNS_24const_host_device_scalarIT2_EEPKiS8_PKS5_S6_S8_S8_SA_S8_PiPS5_21rocsparse_index_base_SD_SD_b
	.p2align	8
	.type	_ZN9rocsparseL39bsrgeam_wf_per_row_multipass_2_3_kernelILj256ELj3ELj64E21rocsparse_complex_numIfEEEv20rocsparse_direction_iiiNS_24const_host_device_scalarIT2_EEPKiS8_PKS5_S6_S8_S8_SA_S8_PiPS5_21rocsparse_index_base_SD_SD_b,@function
_ZN9rocsparseL39bsrgeam_wf_per_row_multipass_2_3_kernelILj256ELj3ELj64E21rocsparse_complex_numIfEEEv20rocsparse_direction_iiiNS_24const_host_device_scalarIT2_EEPKiS8_PKS5_S6_S8_S8_SA_S8_PiPS5_21rocsparse_index_base_SD_SD_b: ; @_ZN9rocsparseL39bsrgeam_wf_per_row_multipass_2_3_kernelILj256ELj3ELj64E21rocsparse_complex_numIfEEEv20rocsparse_direction_iiiNS_24const_host_device_scalarIT2_EEPKiS8_PKS5_S6_S8_S8_SA_S8_PiPS5_21rocsparse_index_base_SD_SD_b
; %bb.0:
	s_load_dwordx4 s[8:11], s[0:1], 0x68
	s_load_dwordx2 s[12:13], s[0:1], 0x10
	s_load_dwordx2 s[6:7], s[0:1], 0x30
	s_waitcnt lgkmcnt(0)
	s_bitcmp1_b32 s11, 0
	s_cselect_b64 s[4:5], -1, 0
	s_xor_b64 s[14:15], s[4:5], -1
	s_and_b64 vcc, exec, s[4:5]
	s_mov_b32 s24, s12
	s_cbranch_vccnz .LBB19_2
; %bb.1:
	s_load_dword s24, s[12:13], 0x0
.LBB19_2:
	v_cndmask_b32_e64 v1, 0, 1, s[14:15]
	v_cmp_ne_u32_e64 s[4:5], 1, v1
	s_andn2_b64 vcc, exec, s[14:15]
	s_mov_b32 s25, s13
	s_cbranch_vccz .LBB19_42
; %bb.3:
	s_and_b64 vcc, exec, s[4:5]
	s_mov_b32 s26, s6
	s_cbranch_vccz .LBB19_43
.LBB19_4:
	s_and_b64 vcc, exec, s[4:5]
	s_mov_b32 s27, s7
	s_cbranch_vccnz .LBB19_6
.LBB19_5:
	s_load_dword s27, s[6:7], 0x4
.LBB19_6:
	s_nop 0
	s_load_dwordx4 s[4:7], s[0:1], 0x0
	s_lshl_b32 s2, s2, 2
	v_lshrrev_b32_e32 v1, 6, v0
	s_and_b32 s2, s2, 0x3fffffc
	v_or_b32_e32 v2, s2, v1
	s_waitcnt lgkmcnt(0)
	v_cmp_gt_i32_e32 vcc, s5, v2
	s_and_saveexec_b64 s[2:3], vcc
	s_cbranch_execz .LBB19_41
; %bb.7:
	s_load_dwordx4 s[12:15], s[0:1], 0x18
	s_load_dwordx4 s[16:19], s[0:1], 0x38
	s_load_dwordx2 s[2:3], s[0:1], 0x50
	v_lshlrev_b32_e32 v6, 2, v2
	s_waitcnt lgkmcnt(0)
	global_load_dwordx2 v[2:3], v6, s[12:13]
	global_load_dwordx2 v[4:5], v6, s[16:17]
	global_load_dword v10, v6, s[2:3]
	s_waitcnt vmcnt(2)
	v_subrev_u32_e32 v6, s8, v2
	v_cmp_lt_i32_e32 vcc, v2, v3
	v_mov_b32_e32 v2, s6
	s_and_saveexec_b64 s[2:3], vcc
	s_cbranch_execz .LBB19_9
; %bb.8:
	v_ashrrev_i32_e32 v7, 31, v6
	v_lshl_add_u64 v[8:9], v[6:7], 2, s[14:15]
	global_load_dword v2, v[8:9], off
	s_waitcnt vmcnt(0)
	v_subrev_u32_e32 v2, s8, v2
.LBB19_9:
	s_or_b64 exec, exec, s[2:3]
	s_load_dwordx4 s[20:23], s[0:1], 0x58
	s_load_dwordx2 s[12:13], s[0:1], 0x28
	s_load_dwordx2 s[16:17], s[0:1], 0x48
	s_waitcnt vmcnt(1)
	v_subrev_u32_e32 v8, s9, v4
	v_cmp_lt_i32_e32 vcc, v4, v5
	v_mov_b32_e32 v4, s6
	s_and_saveexec_b64 s[0:1], vcc
	s_cbranch_execz .LBB19_11
; %bb.10:
	v_ashrrev_i32_e32 v9, 31, v8
	v_lshl_add_u64 v[12:13], v[8:9], 2, s[18:19]
	global_load_dword v4, v[12:13], off
	s_waitcnt vmcnt(0)
	v_subrev_u32_e32 v4, s9, v4
.LBB19_11:
	s_or_b64 exec, exec, s[0:1]
	v_subrev_u32_e32 v30, s8, v3
	v_and_b32_e32 v3, 63, v0
	s_movk_i32 s0, 0x1200
	v_min_i32_e32 v43, v4, v2
	v_mul_u32_u24_e32 v2, 0x48, v3
	v_mul_u32_u24_e32 v29, 0x1200, v1
	v_mad_u32_u24 v33, v1, s0, v2
	v_mbcnt_lo_u32_b32 v1, -1, 0
	v_mbcnt_hi_u32_b32 v1, -1, v1
	v_and_b32_e32 v7, 0xc0, v0
	v_and_b32_e32 v2, 64, v1
	v_bitop3_b32 v0, v0, 63, v0 bitop3:0xc
	s_waitcnt vmcnt(0)
	v_subrev_u32_e32 v32, s10, v10
	v_add_u32_e32 v2, 64, v2
	v_lshrrev_b64 v[10:11], v0, -1
	v_xor_b32_e32 v0, 32, v1
	v_cmp_lt_i32_e32 vcc, v0, v2
	s_cmp_lg_u32 s4, 0
	s_mov_b32 s0, 0
	v_cndmask_b32_e32 v0, v1, v0, vcc
	v_lshlrev_b32_e32 v35, 2, v0
	v_xor_b32_e32 v0, 16, v1
	v_cmp_lt_i32_e32 vcc, v0, v2
	s_cselect_b64 s[2:3], -1, 0
	s_xor_b32 s28, s25, 0x80000000
	v_cndmask_b32_e32 v0, v1, v0, vcc
	v_lshlrev_b32_e32 v36, 2, v0
	v_xor_b32_e32 v0, 8, v1
	v_cmp_lt_i32_e32 vcc, v0, v2
	s_xor_b32 s30, s27, 0x80000000
	v_or_b32_e32 v28, 0x4800, v7
	v_cndmask_b32_e32 v0, v1, v0, vcc
	v_lshlrev_b32_e32 v37, 2, v0
	v_xor_b32_e32 v0, 4, v1
	v_cmp_lt_i32_e32 vcc, v0, v2
	v_mov_b32_e32 v9, 0
	s_cmp_eq_u32 s4, 0
	v_cndmask_b32_e32 v0, v1, v0, vcc
	v_lshlrev_b32_e32 v38, 2, v0
	v_xor_b32_e32 v0, 2, v1
	v_cmp_lt_i32_e32 vcc, v0, v2
	v_add_u32_e32 v34, s10, v3
	s_mov_b32 s1, s0
	v_cndmask_b32_e32 v0, v1, v0, vcc
	v_lshlrev_b32_e32 v39, 2, v0
	v_xor_b32_e32 v0, 1, v1
	v_cmp_lt_i32_e32 vcc, v0, v2
	s_mov_b32 s10, s0
	s_mov_b32 s11, s0
	v_cndmask_b32_e32 v0, v1, v0, vcc
	v_lshlrev_b32_e32 v40, 2, v0
	v_cndmask_b32_e64 v0, 0, 1, s[2:3]
	v_subrev_u32_e32 v31, s9, v5
	v_add_u32_e32 v4, v6, v3
	v_add_u32_e32 v6, v8, v3
	s_movk_i32 s7, 0x48
	s_cselect_b32 s33, 8, 24
	s_cselect_b32 s40, 16, 48
	;; [unrolled: 1-line block ×6, first 2 shown]
	s_mov_b32 s29, s24
	s_mov_b32 s31, s26
	s_mov_b64 s[4:5], 0
	v_add_u32_e32 v41, v28, v3
	v_mov_b64_e32 v[12:13], s[0:1]
	v_mov_b64_e32 v[14:15], s[10:11]
	v_mov_b32_e32 v46, v9
	v_mov_b32_e32 v47, v9
	;; [unrolled: 1-line block ×3, first 2 shown]
	v_cmp_ne_u32_e64 s[0:1], 1, v0
	s_branch .LBB19_13
.LBB19_12:                              ;   in Loop: Header=BB19_13 Depth=1
	s_or_b64 exec, exec, s[10:11]
	ds_bpermute_b32 v0, v35, v44
	s_bcnt1_i32_b64 s2, vcc
	v_add_u32_e32 v32, s2, v32
	s_waitcnt lgkmcnt(0)
	v_min_i32_e32 v0, v0, v44
	ds_bpermute_b32 v1, v36, v0
	s_waitcnt lgkmcnt(0)
	v_min_i32_e32 v0, v1, v0
	ds_bpermute_b32 v1, v37, v0
	s_waitcnt lgkmcnt(0)
	v_min_i32_e32 v0, v1, v0
	ds_bpermute_b32 v1, v38, v0
	s_waitcnt lgkmcnt(0)
	v_min_i32_e32 v0, v1, v0
	ds_bpermute_b32 v1, v39, v0
	s_waitcnt lgkmcnt(0)
	v_min_i32_e32 v0, v1, v0
	ds_bpermute_b32 v1, v40, v0
	s_waitcnt lgkmcnt(0)
	v_min_i32_e32 v43, v1, v0
	v_cmp_le_i32_e32 vcc, s6, v43
	s_or_b64 s[4:5], vcc, s[4:5]
	s_andn2_b64 exec, exec, s[4:5]
	s_cbranch_execz .LBB19_41
.LBB19_13:                              ; =>This Loop Header: Depth=1
                                        ;     Child Loop BB19_16 Depth 2
                                        ;     Child Loop BB19_29 Depth 2
	v_cmp_lt_i32_e32 vcc, v4, v30
	v_mov_b32_e32 v44, s6
	ds_write_b8 v41, v9
	ds_write2_b64 v33, v[12:13], v[14:15] offset1:1
	ds_write2_b64 v33, v[12:13], v[14:15] offset0:2 offset1:3
	ds_write2_b64 v33, v[12:13], v[14:15] offset0:4 offset1:5
	;; [unrolled: 1-line block ×3, first 2 shown]
	ds_write_b64 v33, v[46:47] offset:64
	s_waitcnt lgkmcnt(0)
	s_and_saveexec_b64 s[10:11], vcc
	s_cbranch_execz .LBB19_26
; %bb.14:                               ;   in Loop: Header=BB19_13 Depth=1
	v_mad_u64_u32 v[0:1], s[2:3], v4, 9, 8
	s_mov_b64 s[34:35], 0
	v_mov_b32_e32 v44, s6
	s_branch .LBB19_16
.LBB19_15:                              ;   in Loop: Header=BB19_16 Depth=2
	s_or_b64 exec, exec, s[38:39]
	s_and_b64 s[2:3], exec, s[36:37]
	s_or_b64 s[34:35], s[2:3], s[34:35]
	s_andn2_b64 exec, exec, s[34:35]
	s_cbranch_execz .LBB19_25
.LBB19_16:                              ;   Parent Loop BB19_13 Depth=1
                                        ; =>  This Inner Loop Header: Depth=2
	v_ashrrev_i32_e32 v5, 31, v4
	v_lshl_add_u64 v[2:3], v[4:5], 2, s[14:15]
	global_load_dword v1, v[2:3], off
	s_waitcnt vmcnt(0)
	v_subrev_u32_e32 v2, s8, v1
	v_sub_u32_e32 v1, v2, v43
	v_cmp_gt_u32_e64 s[2:3], 64, v1
	v_cmp_lt_u32_e32 vcc, 63, v1
	s_and_saveexec_b64 s[36:37], vcc
	s_xor_b64 s[36:37], exec, s[36:37]
; %bb.17:                               ;   in Loop: Header=BB19_16 Depth=2
	v_min_i32_e32 v44, v2, v44
                                        ; implicit-def: $vgpr1
; %bb.18:                               ;   in Loop: Header=BB19_16 Depth=2
	s_andn2_saveexec_b64 s[36:37], s[36:37]
	s_cbranch_execz .LBB19_23
; %bb.19:                               ;   in Loop: Header=BB19_16 Depth=2
	v_add_u32_e32 v8, -8, v0
	v_lshl_add_u64 v[2:3], v[8:9], 3, s[12:13]
	global_load_dwordx2 v[18:19], v[2:3], off
	v_add_u32_e32 v3, v28, v1
	v_mul_lo_u32 v1, v1, s7
	v_add_u32_e32 v5, v29, v1
	s_mov_b64 s[38:39], -1
	s_and_b64 vcc, exec, s[0:1]
	v_add_u32_e32 v16, -2, v0
	v_add_u32_e32 v24, -7, v0
	;; [unrolled: 1-line block ×6, first 2 shown]
	ds_write_b8 v3, v42
	s_waitcnt vmcnt(0)
	v_pk_mul_f32 v[26:27], v[18:19], s[28:29] op_sel:[1,0]
	s_nop 0
	v_pk_fma_f32 v[18:19], s[24:25], v[18:19], v[26:27] op_sel_hi:[1,0,1]
	ds_write_b64 v5, v[18:19]
	v_add_u32_e32 v18, -3, v0
	s_cbranch_vccnz .LBB19_21
; %bb.20:                               ;   in Loop: Header=BB19_16 Depth=2
	v_lshl_add_u64 v[26:27], v[8:9], 3, s[12:13]
	v_mov_b32_e32 v17, v9
	v_mov_b32_e32 v25, v9
	;; [unrolled: 1-line block ×4, first 2 shown]
	v_lshl_add_u64 v[48:49], v[16:17], 3, s[12:13]
	v_lshl_add_u64 v[50:51], v[24:25], 3, s[12:13]
	;; [unrolled: 1-line block ×3, first 2 shown]
	global_load_dwordx2 v[54:55], v[26:27], off
	global_load_dwordx2 v[56:57], v[48:49], off
	;; [unrolled: 1-line block ×4, first 2 shown]
	v_lshl_add_u64 v[26:27], v[2:3], 3, s[12:13]
	v_mov_b32_e32 v23, v9
	v_mov_b32_e32 v19, v9
	;; [unrolled: 1-line block ×3, first 2 shown]
	v_lshl_add_u64 v[48:49], v[22:23], 3, s[12:13]
	v_lshl_add_u64 v[50:51], v[18:19], 3, s[12:13]
	;; [unrolled: 1-line block ×3, first 2 shown]
	global_load_dwordx2 v[62:63], v[26:27], off
	global_load_dwordx2 v[64:65], v[48:49], off
	;; [unrolled: 1-line block ×4, first 2 shown]
	s_mov_b64 s[38:39], 0
	s_waitcnt vmcnt(7)
	v_pk_mul_f32 v[26:27], v[54:55], s[28:29] op_sel:[1,0]
	s_waitcnt vmcnt(6)
	v_pk_mul_f32 v[48:49], v[56:57], s[28:29] op_sel:[1,0]
	v_pk_fma_f32 v[26:27], s[24:25], v[54:55], v[26:27] op_sel_hi:[1,0,1]
	s_waitcnt vmcnt(5)
	v_pk_mul_f32 v[50:51], v[58:59], s[28:29] op_sel:[1,0]
	s_waitcnt vmcnt(4)
	v_pk_mul_f32 v[52:53], v[60:61], s[28:29] op_sel:[1,0]
	v_pk_fma_f32 v[48:49], s[24:25], v[56:57], v[48:49] op_sel_hi:[1,0,1]
	v_pk_fma_f32 v[50:51], s[24:25], v[58:59], v[50:51] op_sel_hi:[1,0,1]
	;; [unrolled: 1-line block ×3, first 2 shown]
	s_waitcnt vmcnt(3)
	v_pk_mul_f32 v[54:55], v[62:63], s[28:29] op_sel:[1,0]
	s_waitcnt vmcnt(2)
	v_pk_mul_f32 v[70:71], v[64:65], s[28:29] op_sel:[1,0]
	;; [unrolled: 2-line block ×4, first 2 shown]
	v_pk_fma_f32 v[54:55], s[24:25], v[62:63], v[54:55] op_sel_hi:[1,0,1]
	v_pk_fma_f32 v[56:57], s[24:25], v[64:65], v[70:71] op_sel_hi:[1,0,1]
	;; [unrolled: 1-line block ×4, first 2 shown]
	ds_write2_b64 v5, v[26:27], v[48:49] offset0:1 offset1:2
	ds_write2_b64 v5, v[50:51], v[52:53] offset0:3 offset1:4
	;; [unrolled: 1-line block ×4, first 2 shown]
.LBB19_21:                              ;   in Loop: Header=BB19_16 Depth=2
	s_andn2_b64 vcc, exec, s[38:39]
	s_cbranch_vccnz .LBB19_23
; %bb.22:                               ;   in Loop: Header=BB19_16 Depth=2
	v_mov_b32_e32 v25, v9
	v_mov_b32_e32 v23, v9
	;; [unrolled: 1-line block ×4, first 2 shown]
	v_lshl_add_u64 v[24:25], v[24:25], 3, s[12:13]
	v_lshl_add_u64 v[22:23], v[22:23], 3, s[12:13]
	;; [unrolled: 1-line block ×5, first 2 shown]
	v_mov_b32_e32 v17, v9
	v_mov_b32_e32 v3, v9
	;; [unrolled: 1-line block ×3, first 2 shown]
	global_load_dwordx2 v[48:49], v[24:25], off
	global_load_dwordx2 v[50:51], v[22:23], off
	;; [unrolled: 1-line block ×4, first 2 shown]
	v_lshl_add_u64 v[16:17], v[16:17], 3, s[12:13]
	v_lshl_add_u64 v[2:3], v[2:3], 3, s[12:13]
	;; [unrolled: 1-line block ×3, first 2 shown]
	global_load_dwordx2 v[22:23], v[18:19], off
	global_load_dwordx2 v[24:25], v[16:17], off
	global_load_dwordx2 v[26:27], v[2:3], off
	global_load_dwordx2 v[56:57], v[20:21], off
	s_waitcnt vmcnt(7)
	v_pk_mul_f32 v[2:3], v[48:49], s[28:29] op_sel:[1,0]
	s_waitcnt vmcnt(6)
	v_pk_mul_f32 v[16:17], v[50:51], s[28:29] op_sel:[1,0]
	;; [unrolled: 2-line block ×8, first 2 shown]
	v_pk_fma_f32 v[2:3], s[24:25], v[48:49], v[2:3] op_sel_hi:[1,0,1]
	v_pk_fma_f32 v[16:17], s[24:25], v[50:51], v[16:17] op_sel_hi:[1,0,1]
	;; [unrolled: 1-line block ×8, first 2 shown]
	ds_write2_b64 v5, v[2:3], v[16:17] offset0:1 offset1:2
	ds_write2_b64 v5, v[18:19], v[20:21] offset0:3 offset1:4
	ds_write2_b64 v5, v[22:23], v[24:25] offset0:5 offset1:6
	ds_write2_b64 v5, v[26:27], v[48:49] offset0:7 offset1:8
.LBB19_23:                              ;   in Loop: Header=BB19_16 Depth=2
	s_or_b64 exec, exec, s[36:37]
	s_mov_b64 s[36:37], -1
	s_and_saveexec_b64 s[38:39], s[2:3]
	s_cbranch_execz .LBB19_15
; %bb.24:                               ;   in Loop: Header=BB19_16 Depth=2
	v_add_u32_e32 v4, 64, v4
	v_cmp_ge_i32_e32 vcc, v4, v30
	v_add_u32_e32 v0, 0x240, v0
	s_orn2_b64 s[36:37], vcc, exec
	s_branch .LBB19_15
.LBB19_25:                              ;   in Loop: Header=BB19_13 Depth=1
	s_or_b64 exec, exec, s[34:35]
.LBB19_26:                              ;   in Loop: Header=BB19_13 Depth=1
	s_or_b64 exec, exec, s[10:11]
	v_cmp_lt_i32_e32 vcc, v6, v31
	s_waitcnt lgkmcnt(0)
	s_and_saveexec_b64 s[10:11], vcc
	s_cbranch_execz .LBB19_39
; %bb.27:                               ;   in Loop: Header=BB19_13 Depth=1
	v_mad_u64_u32 v[16:17], s[2:3], v6, 9, 8
	s_mov_b64 s[34:35], 0
	s_branch .LBB19_29
.LBB19_28:                              ;   in Loop: Header=BB19_29 Depth=2
	s_or_b64 exec, exec, s[38:39]
	s_and_b64 s[2:3], exec, s[36:37]
	s_or_b64 s[34:35], s[2:3], s[34:35]
	s_andn2_b64 exec, exec, s[34:35]
	s_cbranch_execz .LBB19_38
.LBB19_29:                              ;   Parent Loop BB19_13 Depth=1
                                        ; =>  This Inner Loop Header: Depth=2
	v_ashrrev_i32_e32 v7, 31, v6
	v_lshl_add_u64 v[0:1], v[6:7], 2, s[18:19]
	global_load_dword v0, v[0:1], off
	s_waitcnt vmcnt(0)
	v_subrev_u32_e32 v1, s9, v0
	v_sub_u32_e32 v0, v1, v43
	v_cmp_gt_u32_e64 s[2:3], 64, v0
	v_cmp_lt_u32_e32 vcc, 63, v0
	s_and_saveexec_b64 s[36:37], vcc
	s_xor_b64 s[36:37], exec, s[36:37]
; %bb.30:                               ;   in Loop: Header=BB19_29 Depth=2
	v_min_i32_e32 v44, v1, v44
                                        ; implicit-def: $vgpr0
; %bb.31:                               ;   in Loop: Header=BB19_29 Depth=2
	s_andn2_saveexec_b64 s[36:37], s[36:37]
	s_cbranch_execz .LBB19_36
; %bb.32:                               ;   in Loop: Header=BB19_29 Depth=2
	v_add_u32_e32 v8, -8, v16
	v_lshl_add_u64 v[2:3], v[8:9], 3, s[16:17]
	global_load_dwordx2 v[48:49], v[2:3], off
	v_add_u32_e32 v7, v28, v0
	v_mul_lo_u32 v0, v0, s7
	v_add_u32_e32 v5, v29, v0
	ds_read2_b64 v[0:3], v5 offset1:1
	s_mov_b64 s[38:39], -1
	s_and_b64 vcc, exec, s[0:1]
	v_add_u32_e32 v20, -2, v16
	v_add_u32_e32 v26, -7, v16
	;; [unrolled: 1-line block ×6, first 2 shown]
	ds_write_b8 v7, v42
	s_waitcnt vmcnt(0) lgkmcnt(1)
	v_pk_fma_f32 v[0:1], s[26:27], v[48:49], v[0:1] op_sel_hi:[1,0,1]
	s_nop 0
	v_pk_fma_f32 v[0:1], s[30:31], v[48:49], v[0:1] op_sel:[0,1,0]
	ds_write_b64 v5, v[0:1]
	v_add_u32_e32 v0, -3, v16
	s_cbranch_vccnz .LBB19_34
; %bb.33:                               ;   in Loop: Header=BB19_29 Depth=2
	v_lshl_add_u64 v[48:49], v[8:9], 3, s[16:17]
	v_mov_b32_e32 v21, v9
	v_mov_b32_e32 v27, v9
	;; [unrolled: 1-line block ×4, first 2 shown]
	v_lshl_add_u64 v[50:51], v[20:21], 3, s[16:17]
	v_lshl_add_u64 v[52:53], v[26:27], 3, s[16:17]
	v_lshl_add_u64 v[54:55], v[22:23], 3, s[16:17]
	global_load_dwordx2 v[60:61], v[48:49], off
	global_load_dwordx2 v[62:63], v[50:51], off
	;; [unrolled: 1-line block ×4, first 2 shown]
	v_lshl_add_u64 v[48:49], v[18:19], 3, s[16:17]
	v_mov_b32_e32 v25, v9
	v_mov_b32_e32 v1, v9
	;; [unrolled: 1-line block ×3, first 2 shown]
	v_lshl_add_u64 v[50:51], v[24:25], 3, s[16:17]
	v_lshl_add_u64 v[52:53], v[0:1], 3, s[16:17]
	;; [unrolled: 1-line block ×3, first 2 shown]
	global_load_dwordx2 v[68:69], v[48:49], off
	global_load_dwordx2 v[70:71], v[50:51], off
	;; [unrolled: 1-line block ×4, first 2 shown]
	ds_read2_b64 v[48:51], v5 offset0:2 offset1:3
	ds_read2_b64 v[52:55], v5 offset0:4 offset1:5
	;; [unrolled: 1-line block ×3, first 2 shown]
	ds_read_b64 v[76:77], v5 offset:64
	s_mov_b64 s[38:39], 0
	s_waitcnt vmcnt(7)
	v_pk_fma_f32 v[78:79], s[26:27], v[60:61], v[2:3] op_sel_hi:[1,0,1]
	s_waitcnt vmcnt(6) lgkmcnt(3)
	v_pk_fma_f32 v[48:49], s[26:27], v[62:63], v[48:49] op_sel_hi:[1,0,1]
	v_pk_fma_f32 v[60:61], s[30:31], v[60:61], v[78:79] op_sel:[0,1,0]
	s_waitcnt vmcnt(5)
	v_pk_fma_f32 v[50:51], s[26:27], v[64:65], v[50:51] op_sel_hi:[1,0,1]
	s_waitcnt vmcnt(4) lgkmcnt(2)
	v_pk_fma_f32 v[52:53], s[26:27], v[66:67], v[52:53] op_sel_hi:[1,0,1]
	v_pk_fma_f32 v[48:49], s[30:31], v[62:63], v[48:49] op_sel:[0,1,0]
	v_pk_fma_f32 v[50:51], s[30:31], v[64:65], v[50:51] op_sel:[0,1,0]
	;; [unrolled: 1-line block ×3, first 2 shown]
	s_waitcnt vmcnt(3)
	v_pk_fma_f32 v[54:55], s[26:27], v[68:69], v[54:55] op_sel_hi:[1,0,1]
	s_waitcnt vmcnt(2) lgkmcnt(1)
	v_pk_fma_f32 v[56:57], s[26:27], v[70:71], v[56:57] op_sel_hi:[1,0,1]
	s_waitcnt vmcnt(1)
	v_pk_fma_f32 v[58:59], s[26:27], v[72:73], v[58:59] op_sel_hi:[1,0,1]
	s_waitcnt vmcnt(0) lgkmcnt(0)
	v_pk_fma_f32 v[76:77], s[26:27], v[74:75], v[76:77] op_sel_hi:[1,0,1]
	v_pk_fma_f32 v[54:55], s[30:31], v[68:69], v[54:55] op_sel:[0,1,0]
	v_pk_fma_f32 v[56:57], s[30:31], v[70:71], v[56:57] op_sel:[0,1,0]
	;; [unrolled: 1-line block ×4, first 2 shown]
	ds_write2_b64 v5, v[60:61], v[48:49] offset0:1 offset1:2
	ds_write2_b64 v5, v[50:51], v[52:53] offset0:3 offset1:4
	;; [unrolled: 1-line block ×4, first 2 shown]
.LBB19_34:                              ;   in Loop: Header=BB19_29 Depth=2
	s_andn2_b64 vcc, exec, s[38:39]
	s_cbranch_vccnz .LBB19_36
; %bb.35:                               ;   in Loop: Header=BB19_29 Depth=2
	v_mov_b32_e32 v27, v9
	v_mov_b32_e32 v23, v9
	;; [unrolled: 1-line block ×3, first 2 shown]
	v_lshl_add_u64 v[26:27], v[26:27], 3, s[16:17]
	v_mov_b32_e32 v25, v9
	v_lshl_add_u64 v[22:23], v[22:23], 3, s[16:17]
	v_lshl_add_u64 v[0:1], v[0:1], 3, s[16:17]
	v_mov_b32_e32 v21, v9
	v_mov_b32_e32 v19, v9
	;; [unrolled: 1-line block ×3, first 2 shown]
	v_lshl_add_u64 v[24:25], v[24:25], 3, s[16:17]
	v_lshl_add_u64 v[48:49], v[8:9], 3, s[16:17]
	global_load_dwordx2 v[52:53], v[26:27], off
	global_load_dwordx2 v[54:55], v[24:25], off
	;; [unrolled: 1-line block ×4, first 2 shown]
	v_lshl_add_u64 v[20:21], v[20:21], 3, s[16:17]
	v_lshl_add_u64 v[18:19], v[18:19], 3, s[16:17]
	;; [unrolled: 1-line block ×3, first 2 shown]
	global_load_dwordx2 v[26:27], v[0:1], off
	global_load_dwordx2 v[60:61], v[20:21], off
	global_load_dwordx2 v[62:63], v[18:19], off
	global_load_dwordx2 v[64:65], v[22:23], off
	ds_read2_b64 v[18:21], v5 offset0:2 offset1:3
	ds_read2_b64 v[22:25], v5 offset0:4 offset1:5
	ds_read2_b64 v[48:51], v5 offset0:6 offset1:7
	ds_read_b64 v[0:1], v5 offset:64
	s_waitcnt vmcnt(7)
	v_pk_fma_f32 v[2:3], s[26:27], v[52:53], v[2:3] op_sel_hi:[1,0,1]
	s_waitcnt vmcnt(6) lgkmcnt(3)
	v_pk_fma_f32 v[18:19], s[26:27], v[54:55], v[18:19] op_sel_hi:[1,0,1]
	s_waitcnt vmcnt(5)
	v_pk_fma_f32 v[20:21], s[26:27], v[56:57], v[20:21] op_sel_hi:[1,0,1]
	s_waitcnt vmcnt(4) lgkmcnt(2)
	v_pk_fma_f32 v[22:23], s[26:27], v[58:59], v[22:23] op_sel_hi:[1,0,1]
	;; [unrolled: 4-line block ×4, first 2 shown]
	v_pk_fma_f32 v[2:3], s[30:31], v[52:53], v[2:3] op_sel:[0,1,0]
	v_pk_fma_f32 v[18:19], s[30:31], v[54:55], v[18:19] op_sel:[0,1,0]
	;; [unrolled: 1-line block ×8, first 2 shown]
	ds_write2_b64 v5, v[2:3], v[18:19] offset0:1 offset1:2
	ds_write2_b64 v5, v[20:21], v[22:23] offset0:3 offset1:4
	;; [unrolled: 1-line block ×4, first 2 shown]
.LBB19_36:                              ;   in Loop: Header=BB19_29 Depth=2
	s_or_b64 exec, exec, s[36:37]
	s_mov_b64 s[36:37], -1
	s_and_saveexec_b64 s[38:39], s[2:3]
	s_cbranch_execz .LBB19_28
; %bb.37:                               ;   in Loop: Header=BB19_29 Depth=2
	v_add_u32_e32 v6, 64, v6
	v_cmp_ge_i32_e32 vcc, v6, v31
	v_add_u32_e32 v16, 0x240, v16
	s_orn2_b64 s[36:37], vcc, exec
	s_branch .LBB19_28
.LBB19_38:                              ;   in Loop: Header=BB19_13 Depth=1
	s_or_b64 exec, exec, s[34:35]
.LBB19_39:                              ;   in Loop: Header=BB19_13 Depth=1
	s_or_b64 exec, exec, s[10:11]
	s_waitcnt lgkmcnt(0)
	ds_read_u8 v0, v41
	s_waitcnt lgkmcnt(0)
	v_and_b32_e32 v1, 1, v0
	v_cmp_eq_u32_e64 s[2:3], 1, v1
	v_cmp_ne_u16_e32 vcc, 0, v0
	s_and_saveexec_b64 s[10:11], s[2:3]
	s_cbranch_execz .LBB19_12
; %bb.40:                               ;   in Loop: Header=BB19_13 Depth=1
	v_and_b32_e32 v1, vcc_lo, v10
	v_and_b32_e32 v0, vcc_hi, v11
	v_bcnt_u32_b32 v1, v1, 0
	v_bcnt_u32_b32 v0, v0, v1
	v_add3_u32 v16, v32, v0, -1
	ds_read2_b64 v[0:3], v33 offset1:4
	v_ashrrev_i32_e32 v17, 31, v16
	v_lshl_add_u32 v8, v16, 3, v16
	v_add_u32_e32 v5, v34, v43
	v_lshl_add_u64 v[18:19], v[16:17], 2, s[20:21]
	v_lshl_add_u64 v[16:17], v[8:9], 3, s[22:23]
	global_store_dword v[18:19], v5, off
	s_waitcnt lgkmcnt(0)
	global_store_dwordx2 v[16:17], v[0:1], off
	v_add_u32_e32 v5, s33, v33
	v_add_u32_e32 v7, s40, v33
	ds_read_b64 v[50:51], v5
	ds_read_b64 v[52:53], v7
	v_add_u32_e32 v0, 1, v8
	v_mov_b32_e32 v1, v9
	v_lshl_add_u64 v[0:1], v[0:1], 3, s[22:23]
	v_add_u32_e32 v16, 2, v8
	v_mov_b32_e32 v17, v9
	v_add_u32_e32 v5, s41, v33
	v_lshl_add_u64 v[16:17], v[16:17], 3, s[22:23]
	ds_read_b64 v[54:55], v5
	ds_read_b64 v[56:57], v33 offset:64
	s_waitcnt lgkmcnt(3)
	global_store_dwordx2 v[0:1], v[50:51], off
	s_waitcnt lgkmcnt(2)
	global_store_dwordx2 v[16:17], v[52:53], off
	v_add_u32_e32 v0, s42, v33
	v_add_u32_e32 v5, s43, v33
	;; [unrolled: 1-line block ×3, first 2 shown]
	ds_read_b64 v[0:1], v0
	ds_read_b64 v[16:17], v5
	ds_read_b64 v[50:51], v7
	v_add_u32_e32 v18, 3, v8
	v_mov_b32_e32 v19, v9
	v_lshl_add_u64 v[18:19], v[18:19], 3, s[22:23]
	v_add_u32_e32 v20, 4, v8
	v_mov_b32_e32 v21, v9
	v_add_u32_e32 v22, 5, v8
	v_mov_b32_e32 v23, v9
	;; [unrolled: 2-line block ×4, first 2 shown]
	v_add_u32_e32 v8, 8, v8
	v_lshl_add_u64 v[20:21], v[20:21], 3, s[22:23]
	v_lshl_add_u64 v[22:23], v[22:23], 3, s[22:23]
	;; [unrolled: 1-line block ×5, first 2 shown]
	s_waitcnt lgkmcnt(4)
	global_store_dwordx2 v[18:19], v[54:55], off
	global_store_dwordx2 v[20:21], v[2:3], off
	s_waitcnt lgkmcnt(2)
	global_store_dwordx2 v[22:23], v[0:1], off
	s_waitcnt lgkmcnt(1)
	;; [unrolled: 2-line block ×3, first 2 shown]
	global_store_dwordx2 v[26:27], v[50:51], off
	global_store_dwordx2 v[48:49], v[56:57], off
	s_branch .LBB19_12
.LBB19_41:
	s_endpgm
.LBB19_42:
	s_load_dword s25, s[12:13], 0x4
	s_and_b64 vcc, exec, s[4:5]
	s_mov_b32 s26, s6
	s_cbranch_vccnz .LBB19_4
.LBB19_43:
	s_load_dword s26, s[6:7], 0x0
	s_and_b64 vcc, exec, s[4:5]
	s_mov_b32 s27, s7
	s_cbranch_vccz .LBB19_5
	s_branch .LBB19_6
	.section	.rodata,"a",@progbits
	.p2align	6, 0x0
	.amdhsa_kernel _ZN9rocsparseL39bsrgeam_wf_per_row_multipass_2_3_kernelILj256ELj3ELj64E21rocsparse_complex_numIfEEEv20rocsparse_direction_iiiNS_24const_host_device_scalarIT2_EEPKiS8_PKS5_S6_S8_S8_SA_S8_PiPS5_21rocsparse_index_base_SD_SD_b
		.amdhsa_group_segment_fixed_size 18688
		.amdhsa_private_segment_fixed_size 0
		.amdhsa_kernarg_size 120
		.amdhsa_user_sgpr_count 2
		.amdhsa_user_sgpr_dispatch_ptr 0
		.amdhsa_user_sgpr_queue_ptr 0
		.amdhsa_user_sgpr_kernarg_segment_ptr 1
		.amdhsa_user_sgpr_dispatch_id 0
		.amdhsa_user_sgpr_kernarg_preload_length 0
		.amdhsa_user_sgpr_kernarg_preload_offset 0
		.amdhsa_user_sgpr_private_segment_size 0
		.amdhsa_uses_dynamic_stack 0
		.amdhsa_enable_private_segment 0
		.amdhsa_system_sgpr_workgroup_id_x 1
		.amdhsa_system_sgpr_workgroup_id_y 0
		.amdhsa_system_sgpr_workgroup_id_z 0
		.amdhsa_system_sgpr_workgroup_info 0
		.amdhsa_system_vgpr_workitem_id 0
		.amdhsa_next_free_vgpr 80
		.amdhsa_next_free_sgpr 45
		.amdhsa_accum_offset 80
		.amdhsa_reserve_vcc 1
		.amdhsa_float_round_mode_32 0
		.amdhsa_float_round_mode_16_64 0
		.amdhsa_float_denorm_mode_32 3
		.amdhsa_float_denorm_mode_16_64 3
		.amdhsa_dx10_clamp 1
		.amdhsa_ieee_mode 1
		.amdhsa_fp16_overflow 0
		.amdhsa_tg_split 0
		.amdhsa_exception_fp_ieee_invalid_op 0
		.amdhsa_exception_fp_denorm_src 0
		.amdhsa_exception_fp_ieee_div_zero 0
		.amdhsa_exception_fp_ieee_overflow 0
		.amdhsa_exception_fp_ieee_underflow 0
		.amdhsa_exception_fp_ieee_inexact 0
		.amdhsa_exception_int_div_zero 0
	.end_amdhsa_kernel
	.section	.text._ZN9rocsparseL39bsrgeam_wf_per_row_multipass_2_3_kernelILj256ELj3ELj64E21rocsparse_complex_numIfEEEv20rocsparse_direction_iiiNS_24const_host_device_scalarIT2_EEPKiS8_PKS5_S6_S8_S8_SA_S8_PiPS5_21rocsparse_index_base_SD_SD_b,"axG",@progbits,_ZN9rocsparseL39bsrgeam_wf_per_row_multipass_2_3_kernelILj256ELj3ELj64E21rocsparse_complex_numIfEEEv20rocsparse_direction_iiiNS_24const_host_device_scalarIT2_EEPKiS8_PKS5_S6_S8_S8_SA_S8_PiPS5_21rocsparse_index_base_SD_SD_b,comdat
.Lfunc_end19:
	.size	_ZN9rocsparseL39bsrgeam_wf_per_row_multipass_2_3_kernelILj256ELj3ELj64E21rocsparse_complex_numIfEEEv20rocsparse_direction_iiiNS_24const_host_device_scalarIT2_EEPKiS8_PKS5_S6_S8_S8_SA_S8_PiPS5_21rocsparse_index_base_SD_SD_b, .Lfunc_end19-_ZN9rocsparseL39bsrgeam_wf_per_row_multipass_2_3_kernelILj256ELj3ELj64E21rocsparse_complex_numIfEEEv20rocsparse_direction_iiiNS_24const_host_device_scalarIT2_EEPKiS8_PKS5_S6_S8_S8_SA_S8_PiPS5_21rocsparse_index_base_SD_SD_b
                                        ; -- End function
	.set _ZN9rocsparseL39bsrgeam_wf_per_row_multipass_2_3_kernelILj256ELj3ELj64E21rocsparse_complex_numIfEEEv20rocsparse_direction_iiiNS_24const_host_device_scalarIT2_EEPKiS8_PKS5_S6_S8_S8_SA_S8_PiPS5_21rocsparse_index_base_SD_SD_b.num_vgpr, 80
	.set _ZN9rocsparseL39bsrgeam_wf_per_row_multipass_2_3_kernelILj256ELj3ELj64E21rocsparse_complex_numIfEEEv20rocsparse_direction_iiiNS_24const_host_device_scalarIT2_EEPKiS8_PKS5_S6_S8_S8_SA_S8_PiPS5_21rocsparse_index_base_SD_SD_b.num_agpr, 0
	.set _ZN9rocsparseL39bsrgeam_wf_per_row_multipass_2_3_kernelILj256ELj3ELj64E21rocsparse_complex_numIfEEEv20rocsparse_direction_iiiNS_24const_host_device_scalarIT2_EEPKiS8_PKS5_S6_S8_S8_SA_S8_PiPS5_21rocsparse_index_base_SD_SD_b.numbered_sgpr, 45
	.set _ZN9rocsparseL39bsrgeam_wf_per_row_multipass_2_3_kernelILj256ELj3ELj64E21rocsparse_complex_numIfEEEv20rocsparse_direction_iiiNS_24const_host_device_scalarIT2_EEPKiS8_PKS5_S6_S8_S8_SA_S8_PiPS5_21rocsparse_index_base_SD_SD_b.num_named_barrier, 0
	.set _ZN9rocsparseL39bsrgeam_wf_per_row_multipass_2_3_kernelILj256ELj3ELj64E21rocsparse_complex_numIfEEEv20rocsparse_direction_iiiNS_24const_host_device_scalarIT2_EEPKiS8_PKS5_S6_S8_S8_SA_S8_PiPS5_21rocsparse_index_base_SD_SD_b.private_seg_size, 0
	.set _ZN9rocsparseL39bsrgeam_wf_per_row_multipass_2_3_kernelILj256ELj3ELj64E21rocsparse_complex_numIfEEEv20rocsparse_direction_iiiNS_24const_host_device_scalarIT2_EEPKiS8_PKS5_S6_S8_S8_SA_S8_PiPS5_21rocsparse_index_base_SD_SD_b.uses_vcc, 1
	.set _ZN9rocsparseL39bsrgeam_wf_per_row_multipass_2_3_kernelILj256ELj3ELj64E21rocsparse_complex_numIfEEEv20rocsparse_direction_iiiNS_24const_host_device_scalarIT2_EEPKiS8_PKS5_S6_S8_S8_SA_S8_PiPS5_21rocsparse_index_base_SD_SD_b.uses_flat_scratch, 0
	.set _ZN9rocsparseL39bsrgeam_wf_per_row_multipass_2_3_kernelILj256ELj3ELj64E21rocsparse_complex_numIfEEEv20rocsparse_direction_iiiNS_24const_host_device_scalarIT2_EEPKiS8_PKS5_S6_S8_S8_SA_S8_PiPS5_21rocsparse_index_base_SD_SD_b.has_dyn_sized_stack, 0
	.set _ZN9rocsparseL39bsrgeam_wf_per_row_multipass_2_3_kernelILj256ELj3ELj64E21rocsparse_complex_numIfEEEv20rocsparse_direction_iiiNS_24const_host_device_scalarIT2_EEPKiS8_PKS5_S6_S8_S8_SA_S8_PiPS5_21rocsparse_index_base_SD_SD_b.has_recursion, 0
	.set _ZN9rocsparseL39bsrgeam_wf_per_row_multipass_2_3_kernelILj256ELj3ELj64E21rocsparse_complex_numIfEEEv20rocsparse_direction_iiiNS_24const_host_device_scalarIT2_EEPKiS8_PKS5_S6_S8_S8_SA_S8_PiPS5_21rocsparse_index_base_SD_SD_b.has_indirect_call, 0
	.section	.AMDGPU.csdata,"",@progbits
; Kernel info:
; codeLenInByte = 3412
; TotalNumSgprs: 51
; NumVgprs: 80
; NumAgprs: 0
; TotalNumVgprs: 80
; ScratchSize: 0
; MemoryBound: 0
; FloatMode: 240
; IeeeMode: 1
; LDSByteSize: 18688 bytes/workgroup (compile time only)
; SGPRBlocks: 6
; VGPRBlocks: 9
; NumSGPRsForWavesPerEU: 51
; NumVGPRsForWavesPerEU: 80
; AccumOffset: 80
; Occupancy: 6
; WaveLimiterHint : 1
; COMPUTE_PGM_RSRC2:SCRATCH_EN: 0
; COMPUTE_PGM_RSRC2:USER_SGPR: 2
; COMPUTE_PGM_RSRC2:TRAP_HANDLER: 0
; COMPUTE_PGM_RSRC2:TGID_X_EN: 1
; COMPUTE_PGM_RSRC2:TGID_Y_EN: 0
; COMPUTE_PGM_RSRC2:TGID_Z_EN: 0
; COMPUTE_PGM_RSRC2:TIDIG_COMP_CNT: 0
; COMPUTE_PGM_RSRC3_GFX90A:ACCUM_OFFSET: 19
; COMPUTE_PGM_RSRC3_GFX90A:TG_SPLIT: 0
	.section	.text._ZN9rocsparseL35bsrgeam_wf_per_row_multipass_kernelILj64ELj4E21rocsparse_complex_numIfEEEv20rocsparse_direction_iiiNS_24const_host_device_scalarIT1_EEPKiS8_PKS5_S6_S8_S8_SA_S8_PiPS5_21rocsparse_index_base_SD_SD_b,"axG",@progbits,_ZN9rocsparseL35bsrgeam_wf_per_row_multipass_kernelILj64ELj4E21rocsparse_complex_numIfEEEv20rocsparse_direction_iiiNS_24const_host_device_scalarIT1_EEPKiS8_PKS5_S6_S8_S8_SA_S8_PiPS5_21rocsparse_index_base_SD_SD_b,comdat
	.globl	_ZN9rocsparseL35bsrgeam_wf_per_row_multipass_kernelILj64ELj4E21rocsparse_complex_numIfEEEv20rocsparse_direction_iiiNS_24const_host_device_scalarIT1_EEPKiS8_PKS5_S6_S8_S8_SA_S8_PiPS5_21rocsparse_index_base_SD_SD_b ; -- Begin function _ZN9rocsparseL35bsrgeam_wf_per_row_multipass_kernelILj64ELj4E21rocsparse_complex_numIfEEEv20rocsparse_direction_iiiNS_24const_host_device_scalarIT1_EEPKiS8_PKS5_S6_S8_S8_SA_S8_PiPS5_21rocsparse_index_base_SD_SD_b
	.p2align	8
	.type	_ZN9rocsparseL35bsrgeam_wf_per_row_multipass_kernelILj64ELj4E21rocsparse_complex_numIfEEEv20rocsparse_direction_iiiNS_24const_host_device_scalarIT1_EEPKiS8_PKS5_S6_S8_S8_SA_S8_PiPS5_21rocsparse_index_base_SD_SD_b,@function
_ZN9rocsparseL35bsrgeam_wf_per_row_multipass_kernelILj64ELj4E21rocsparse_complex_numIfEEEv20rocsparse_direction_iiiNS_24const_host_device_scalarIT1_EEPKiS8_PKS5_S6_S8_S8_SA_S8_PiPS5_21rocsparse_index_base_SD_SD_b: ; @_ZN9rocsparseL35bsrgeam_wf_per_row_multipass_kernelILj64ELj4E21rocsparse_complex_numIfEEEv20rocsparse_direction_iiiNS_24const_host_device_scalarIT1_EEPKiS8_PKS5_S6_S8_S8_SA_S8_PiPS5_21rocsparse_index_base_SD_SD_b
; %bb.0:
	s_load_dwordx4 s[8:11], s[0:1], 0x68
	s_load_dwordx2 s[6:7], s[0:1], 0x10
	s_load_dwordx2 s[12:13], s[0:1], 0x30
	s_waitcnt lgkmcnt(0)
	s_bitcmp1_b32 s11, 0
	s_cselect_b64 s[4:5], -1, 0
	s_xor_b64 s[14:15], s[4:5], -1
	s_and_b64 vcc, exec, s[4:5]
	s_mov_b32 s20, s6
	s_cbranch_vccnz .LBB20_2
; %bb.1:
	s_load_dword s20, s[6:7], 0x0
.LBB20_2:
	v_cndmask_b32_e64 v1, 0, 1, s[14:15]
	v_cmp_ne_u32_e64 s[4:5], 1, v1
	s_andn2_b64 vcc, exec, s[14:15]
	s_mov_b32 s21, s7
	s_cbranch_vccnz .LBB20_63
; %bb.3:
	s_load_dword s21, s[6:7], 0x4
	s_and_b64 vcc, exec, s[4:5]
	s_mov_b32 s22, s12
	s_cbranch_vccz .LBB20_64
.LBB20_4:
	s_load_dwordx2 s[6:7], s[0:1], 0x18
	s_and_b64 vcc, exec, s[4:5]
	s_mov_b32 s23, s13
	s_cbranch_vccnz .LBB20_6
.LBB20_5:
	s_load_dword s23, s[12:13], 0x4
.LBB20_6:
	s_nop 0
	s_load_dwordx4 s[12:15], s[0:1], 0x0
	v_lshrrev_b32_e32 v1, 4, v0
	v_lshl_or_b32 v8, s2, 2, v1
	v_mov_b32_e32 v11, 0
	v_ashrrev_i32_e32 v9, 31, v8
	s_waitcnt lgkmcnt(0)
	v_cmp_le_i32_e32 vcc, s13, v8
	v_cmp_gt_i32_e64 s[2:3], s13, v8
	v_mov_b32_e32 v2, 0
	s_and_saveexec_b64 s[4:5], s[2:3]
	s_cbranch_execz .LBB20_8
; %bb.7:
	v_lshl_add_u64 v[2:3], v[8:9], 2, s[6:7]
	global_load_dword v2, v[2:3], off
	s_waitcnt vmcnt(0)
	v_subrev_u32_e32 v2, s8, v2
.LBB20_8:
	s_or_b64 exec, exec, s[4:5]
	s_load_dwordx2 s[4:5], s[0:1], 0x38
	s_and_saveexec_b64 s[16:17], s[2:3]
	s_cbranch_execz .LBB20_10
; %bb.9:
	v_lshl_add_u64 v[4:5], v[8:9], 2, s[6:7]
	global_load_dword v3, v[4:5], off offset:4
	s_waitcnt vmcnt(0)
	v_subrev_u32_e32 v11, s8, v3
.LBB20_10:
	s_or_b64 exec, exec, s[16:17]
	v_mov_b32_e32 v13, 0
	v_mov_b32_e32 v4, 0
	s_and_saveexec_b64 s[6:7], s[2:3]
	s_cbranch_execz .LBB20_12
; %bb.11:
	s_waitcnt lgkmcnt(0)
	v_lshl_add_u64 v[4:5], v[8:9], 2, s[4:5]
	global_load_dword v3, v[4:5], off
	s_waitcnt vmcnt(0)
	v_subrev_u32_e32 v4, s9, v3
.LBB20_12:
	s_or_b64 exec, exec, s[6:7]
	s_and_saveexec_b64 s[6:7], s[2:3]
	s_cbranch_execz .LBB20_14
; %bb.13:
	s_waitcnt lgkmcnt(0)
	v_lshl_add_u64 v[6:7], v[8:9], 2, s[4:5]
	global_load_dword v3, v[6:7], off offset:4
	s_waitcnt vmcnt(0)
	v_subrev_u32_e32 v13, s9, v3
.LBB20_14:
	s_or_b64 exec, exec, s[6:7]
	s_load_dwordx2 s[24:25], s[0:1], 0x20
	v_mov_b32_e32 v6, 0
	s_waitcnt lgkmcnt(0)
	s_and_saveexec_b64 s[4:5], s[2:3]
	s_cbranch_execz .LBB20_16
; %bb.15:
	s_load_dwordx2 s[2:3], s[0:1], 0x50
	s_waitcnt lgkmcnt(0)
	v_lshl_add_u64 v[6:7], v[8:9], 2, s[2:3]
	global_load_dword v3, v[6:7], off
	s_waitcnt vmcnt(0)
	v_subrev_u32_e32 v6, s10, v3
.LBB20_16:
	s_or_b64 exec, exec, s[4:5]
	s_load_dwordx2 s[26:27], s[0:1], 0x40
	v_cmp_lt_i32_e64 s[2:3], v2, v11
	v_mov_b32_e32 v3, s14
	s_and_saveexec_b64 s[4:5], s[2:3]
	s_cbranch_execz .LBB20_18
; %bb.17:
	v_ashrrev_i32_e32 v3, 31, v2
	v_lshl_add_u64 v[8:9], v[2:3], 2, s[24:25]
	global_load_dword v3, v[8:9], off
	s_waitcnt vmcnt(0)
	v_subrev_u32_e32 v3, s8, v3
.LBB20_18:
	s_or_b64 exec, exec, s[4:5]
	v_cmp_lt_i32_e64 s[2:3], v4, v13
	v_mov_b32_e32 v5, s14
	s_and_saveexec_b64 s[4:5], s[2:3]
	s_cbranch_execz .LBB20_20
; %bb.19:
	v_ashrrev_i32_e32 v5, 31, v4
	s_waitcnt lgkmcnt(0)
	v_lshl_add_u64 v[8:9], v[4:5], 2, s[26:27]
	global_load_dword v5, v[8:9], off
	s_waitcnt vmcnt(0)
	v_subrev_u32_e32 v5, s9, v5
.LBB20_20:
	s_or_b64 exec, exec, s[4:5]
	v_cndmask_b32_e64 v8, 0, 1, vcc
	v_lshlrev_b32_e32 v7, 2, v1
	ds_write_b32 v7, v8 offset:512
	v_mov_b32_e32 v8, 0
	s_waitcnt lgkmcnt(0)
	; wave barrier
	ds_read_b32 v9, v8 offset:512
	s_waitcnt lgkmcnt(0)
	v_cmp_lt_u32_e32 vcc, 3, v9
	s_cbranch_vccnz .LBB20_65
; %bb.21:
	v_or_b32_e32 v18, 0x200, v7
	v_and_b32_e32 v10, 3, v0
	v_bfe_u32 v12, v0, 2, 2
	v_min_i32_e32 v7, v5, v3
	v_mov_b32_e32 v3, 0x210
	s_load_dwordx4 s[16:19], s[0:1], 0x58
	s_load_dwordx2 s[28:29], s[0:1], 0x28
	s_load_dwordx2 s[30:31], s[0:1], 0x48
	v_lshl_or_b32 v19, v1, 2, v3
	v_max_i32_e32 v1, v12, v10
	v_cmp_gt_i32_e64 s[0:1], s15, v1
	v_and_b32_e32 v1, 48, v0
	v_lshlrev_b32_e32 v1, 3, v1
	v_lshlrev_b32_e32 v3, 5, v12
	;; [unrolled: 1-line block ×3, first 2 shown]
	v_or3_b32 v21, v1, v3, v5
	v_lshlrev_b32_e32 v3, 5, v10
	v_lshlrev_b32_e32 v5, 3, v12
	s_cmp_lg_u32 s12, 0
	v_or3_b32 v22, v1, v3, v5
	v_mov_b32_e32 v1, 0x200
	v_lshlrev_b32_e32 v20, 3, v0
	s_cselect_b64 s[12:13], -1, 0
	s_xor_b32 s34, s21, 0x80000000
	s_xor_b32 s36, s23, 0x80000000
	v_cmp_gt_u32_e64 s[2:3], 2, v0
	v_lshl_or_b32 v23, v0, 2, v1
	v_cmp_eq_u32_e64 s[4:5], 0, v0
	s_mov_b32 s35, s20
	s_mov_b32 s37, s22
	s_mul_i32 s11, s15, s15
	v_mov_b32_e32 v9, v8
	v_mov_b32_e32 v24, 1
	s_branch .LBB20_23
.LBB20_22:                              ;   in Loop: Header=BB20_23 Depth=1
	s_or_b64 exec, exec, s[6:7]
	s_waitcnt lgkmcnt(0)
	; wave barrier
	ds_read_b32 v0, v8 offset:512
	v_add_u32_e32 v6, 1, v6
	v_mov_b32_e32 v7, v3
	s_waitcnt lgkmcnt(0)
	v_cmp_gt_u32_e32 vcc, 4, v0
	s_cbranch_vccz .LBB20_65
.LBB20_23:                              ; =>This Loop Header: Depth=1
                                        ;     Child Loop BB20_26 Depth 2
                                        ;     Child Loop BB20_41 Depth 2
	v_cmp_lt_i32_e32 vcc, v2, v11
	v_mov_b32_e32 v3, s14
	ds_write_b32 v19, v8
	ds_write_b64 v20, v[8:9]
	s_waitcnt lgkmcnt(0)
	; wave barrier
	s_and_saveexec_b64 s[38:39], vcc
	s_cbranch_execz .LBB20_38
; %bb.24:                               ;   in Loop: Header=BB20_23 Depth=1
	v_mul_lo_u32 v3, s15, v2
	v_add_u32_e32 v0, v10, v3
	v_mad_u64_u32 v[0:1], s[6:7], s15, v0, v[12:13]
	v_add_u32_e32 v1, v12, v3
	v_ashrrev_i32_e32 v3, 31, v2
	v_mad_u64_u32 v[14:15], s[6:7], s15, v1, v[10:11]
	v_lshl_add_u64 v[16:17], v[2:3], 2, s[24:25]
	s_mov_b64 s[40:41], 0
	v_mov_b32_e32 v1, 0
	v_mov_b32_e32 v3, s14
	s_branch .LBB20_26
.LBB20_25:                              ;   in Loop: Header=BB20_26 Depth=2
	s_or_b64 exec, exec, s[44:45]
	s_and_b64 s[6:7], exec, s[42:43]
	v_mov_b32_e32 v15, v2
	s_or_b64 s[40:41], s[6:7], s[40:41]
	v_mov_b32_e32 v2, v5
	s_andn2_b64 exec, exec, s[40:41]
	s_cbranch_execz .LBB20_37
.LBB20_26:                              ;   Parent Loop BB20_23 Depth=1
                                        ; =>  This Inner Loop Header: Depth=2
	global_load_dword v5, v[16:17], off
	s_waitcnt vmcnt(0)
	v_subrev_u32_e32 v5, s8, v5
	v_cmp_le_i32_e64 s[6:7], v5, v7
	s_and_saveexec_b64 s[42:43], s[6:7]
	s_xor_b64 s[42:43], exec, s[42:43]
	s_cbranch_execz .LBB20_32
; %bb.27:                               ;   in Loop: Header=BB20_26 Depth=2
	ds_write_b32 v19, v24
	s_and_saveexec_b64 s[44:45], s[0:1]
	s_cbranch_execz .LBB20_31
; %bb.28:                               ;   in Loop: Header=BB20_26 Depth=2
	s_and_b64 vcc, exec, s[12:13]
	s_cbranch_vccz .LBB20_36
; %bb.29:                               ;   in Loop: Header=BB20_26 Depth=2
	v_add_u32_e32 v26, v14, v1
	v_ashrrev_i32_e32 v27, 31, v26
	v_lshl_add_u64 v[26:27], v[26:27], 3, s[28:29]
	global_load_dwordx2 v[26:27], v[26:27], off
	s_waitcnt vmcnt(0)
	v_pk_mul_f32 v[28:29], v[26:27], s[34:35] op_sel:[1,0]
	s_nop 0
	v_pk_fma_f32 v[26:27], s[20:21], v[26:27], v[28:29] op_sel_hi:[1,0,1]
	ds_write_b64 v21, v[26:27]
	s_cbranch_execnz .LBB20_31
.LBB20_30:                              ;   in Loop: Header=BB20_26 Depth=2
	v_add_u32_e32 v26, v0, v1
	v_ashrrev_i32_e32 v27, 31, v26
	v_lshl_add_u64 v[26:27], v[26:27], 3, s[28:29]
	global_load_dwordx2 v[26:27], v[26:27], off
	s_waitcnt vmcnt(0)
	v_pk_mul_f32 v[28:29], v[26:27], s[34:35] op_sel:[1,0]
	s_nop 0
	v_pk_fma_f32 v[26:27], s[20:21], v[26:27], v[28:29] op_sel_hi:[1,0,1]
	ds_write_b64 v22, v[26:27]
.LBB20_31:                              ;   in Loop: Header=BB20_26 Depth=2
	s_or_b64 exec, exec, s[44:45]
                                        ; implicit-def: $vgpr5
	s_andn2_saveexec_b64 s[42:43], s[42:43]
	s_branch .LBB20_33
.LBB20_32:                              ;   in Loop: Header=BB20_26 Depth=2
	s_andn2_saveexec_b64 s[42:43], s[42:43]
.LBB20_33:                              ;   in Loop: Header=BB20_26 Depth=2
	v_min_i32_e32 v3, v5, v3
; %bb.34:                               ;   in Loop: Header=BB20_26 Depth=2
	s_or_b64 exec, exec, s[42:43]
	s_mov_b64 s[42:43], -1
                                        ; implicit-def: $vgpr5
	s_and_saveexec_b64 s[44:45], s[6:7]
	s_cbranch_execz .LBB20_25
; %bb.35:                               ;   in Loop: Header=BB20_26 Depth=2
	v_add_u32_e32 v5, 1, v2
	v_cmp_ge_i32_e32 vcc, v5, v11
	v_add_u32_e32 v1, s11, v1
	v_lshl_add_u64 v[16:17], v[16:17], 0, 4
	s_orn2_b64 s[42:43], vcc, exec
	v_mov_b32_e32 v2, v11
	s_branch .LBB20_25
.LBB20_36:                              ;   in Loop: Header=BB20_26 Depth=2
	s_branch .LBB20_30
.LBB20_37:                              ;   in Loop: Header=BB20_23 Depth=1
	s_or_b64 exec, exec, s[40:41]
	v_mov_b32_e32 v2, v15
.LBB20_38:                              ;   in Loop: Header=BB20_23 Depth=1
	s_or_b64 exec, exec, s[38:39]
	v_cmp_lt_i32_e32 vcc, v4, v13
	s_waitcnt lgkmcnt(0)
	; wave barrier
	s_and_saveexec_b64 s[38:39], vcc
	s_cbranch_execz .LBB20_53
; %bb.39:                               ;   in Loop: Header=BB20_23 Depth=1
	v_mul_lo_u32 v5, s15, v4
	v_add_u32_e32 v0, v10, v5
	v_mad_u64_u32 v[0:1], s[6:7], s15, v0, v[12:13]
	v_add_u32_e32 v1, v12, v5
	v_ashrrev_i32_e32 v5, 31, v4
	v_mad_u64_u32 v[14:15], s[6:7], s15, v1, v[10:11]
	v_lshl_add_u64 v[16:17], v[4:5], 2, s[26:27]
	s_mov_b64 s[40:41], 0
	v_mov_b32_e32 v1, 0
	s_branch .LBB20_41
.LBB20_40:                              ;   in Loop: Header=BB20_41 Depth=2
	s_or_b64 exec, exec, s[44:45]
	s_and_b64 s[6:7], exec, s[42:43]
	v_mov_b32_e32 v15, v4
	s_or_b64 s[40:41], s[6:7], s[40:41]
	v_mov_b32_e32 v4, v5
	s_andn2_b64 exec, exec, s[40:41]
	s_cbranch_execz .LBB20_52
.LBB20_41:                              ;   Parent Loop BB20_23 Depth=1
                                        ; =>  This Inner Loop Header: Depth=2
	global_load_dword v5, v[16:17], off
	s_waitcnt vmcnt(0)
	v_subrev_u32_e32 v5, s9, v5
	v_cmp_le_i32_e64 s[6:7], v5, v7
	s_and_saveexec_b64 s[42:43], s[6:7]
	s_xor_b64 s[42:43], exec, s[42:43]
	s_cbranch_execz .LBB20_47
; %bb.42:                               ;   in Loop: Header=BB20_41 Depth=2
	ds_write_b32 v19, v24
	s_and_saveexec_b64 s[44:45], s[0:1]
	s_cbranch_execz .LBB20_46
; %bb.43:                               ;   in Loop: Header=BB20_41 Depth=2
	s_and_b64 vcc, exec, s[12:13]
	s_cbranch_vccz .LBB20_51
; %bb.44:                               ;   in Loop: Header=BB20_41 Depth=2
	v_add_u32_e32 v26, v14, v1
	v_ashrrev_i32_e32 v27, 31, v26
	v_lshl_add_u64 v[26:27], v[26:27], 3, s[30:31]
	global_load_dwordx2 v[26:27], v[26:27], off
	ds_read_b64 v[28:29], v21
	s_waitcnt vmcnt(0) lgkmcnt(0)
	v_pk_fma_f32 v[28:29], s[22:23], v[26:27], v[28:29] op_sel_hi:[1,0,1]
	s_nop 0
	v_pk_fma_f32 v[26:27], s[36:37], v[26:27], v[28:29] op_sel:[0,1,0]
	ds_write_b64 v21, v[26:27]
	s_cbranch_execnz .LBB20_46
.LBB20_45:                              ;   in Loop: Header=BB20_41 Depth=2
	v_add_u32_e32 v26, v0, v1
	v_ashrrev_i32_e32 v27, 31, v26
	v_lshl_add_u64 v[26:27], v[26:27], 3, s[30:31]
	global_load_dwordx2 v[26:27], v[26:27], off
	ds_read_b64 v[28:29], v22
	s_waitcnt vmcnt(0) lgkmcnt(0)
	v_pk_fma_f32 v[28:29], s[22:23], v[26:27], v[28:29] op_sel_hi:[1,0,1]
	s_nop 0
	v_pk_fma_f32 v[26:27], s[36:37], v[26:27], v[28:29] op_sel:[0,1,0]
	ds_write_b64 v22, v[26:27]
.LBB20_46:                              ;   in Loop: Header=BB20_41 Depth=2
	s_or_b64 exec, exec, s[44:45]
                                        ; implicit-def: $vgpr5
	s_andn2_saveexec_b64 s[42:43], s[42:43]
	s_branch .LBB20_48
.LBB20_47:                              ;   in Loop: Header=BB20_41 Depth=2
	s_andn2_saveexec_b64 s[42:43], s[42:43]
.LBB20_48:                              ;   in Loop: Header=BB20_41 Depth=2
	v_min_i32_e32 v3, v5, v3
; %bb.49:                               ;   in Loop: Header=BB20_41 Depth=2
	s_or_b64 exec, exec, s[42:43]
	s_mov_b64 s[42:43], -1
                                        ; implicit-def: $vgpr5
	s_and_saveexec_b64 s[44:45], s[6:7]
	s_cbranch_execz .LBB20_40
; %bb.50:                               ;   in Loop: Header=BB20_41 Depth=2
	v_add_u32_e32 v5, 1, v4
	v_cmp_ge_i32_e32 vcc, v5, v13
	v_add_u32_e32 v1, s11, v1
	v_lshl_add_u64 v[16:17], v[16:17], 0, 4
	s_orn2_b64 s[42:43], vcc, exec
	v_mov_b32_e32 v4, v13
	s_branch .LBB20_40
.LBB20_51:                              ;   in Loop: Header=BB20_41 Depth=2
	s_branch .LBB20_45
.LBB20_52:                              ;   in Loop: Header=BB20_23 Depth=1
	s_or_b64 exec, exec, s[40:41]
	v_mov_b32_e32 v4, v15
.LBB20_53:                              ;   in Loop: Header=BB20_23 Depth=1
	s_or_b64 exec, exec, s[38:39]
	s_waitcnt lgkmcnt(0)
	; wave barrier
	ds_read_b32 v0, v19
	s_waitcnt lgkmcnt(0)
	v_cmp_ne_u32_e32 vcc, 0, v0
	s_and_saveexec_b64 s[6:7], vcc
	s_cbranch_execz .LBB20_58
; %bb.54:                               ;   in Loop: Header=BB20_23 Depth=1
	v_add_u32_e32 v5, s10, v7
	v_ashrrev_i32_e32 v7, 31, v6
	v_lshl_add_u64 v[0:1], v[6:7], 2, s[16:17]
	global_store_dword v[0:1], v5, off
	s_and_b64 exec, exec, s[0:1]
	s_cbranch_execz .LBB20_58
; %bb.55:                               ;   in Loop: Header=BB20_23 Depth=1
	v_mul_lo_u32 v0, v6, s15
	s_and_b64 vcc, exec, s[12:13]
	s_cbranch_vccz .LBB20_62
; %bb.56:                               ;   in Loop: Header=BB20_23 Depth=1
	ds_read_b64 v[14:15], v21
	v_add_u32_e32 v1, v0, v12
	v_mad_u64_u32 v[16:17], s[38:39], v1, s15, v[10:11]
	v_ashrrev_i32_e32 v17, 31, v16
	v_lshl_add_u64 v[16:17], v[16:17], 3, s[18:19]
	s_waitcnt lgkmcnt(0)
	global_store_dwordx2 v[16:17], v[14:15], off
	s_cbranch_execnz .LBB20_58
.LBB20_57:                              ;   in Loop: Header=BB20_23 Depth=1
	v_add_u32_e32 v5, v0, v10
	ds_read_b64 v[0:1], v22
	v_mad_u64_u32 v[14:15], s[38:39], v5, s15, v[12:13]
	v_ashrrev_i32_e32 v15, 31, v14
	v_lshl_add_u64 v[14:15], v[14:15], 3, s[18:19]
	s_waitcnt lgkmcnt(0)
	global_store_dwordx2 v[14:15], v[0:1], off
.LBB20_58:                              ;   in Loop: Header=BB20_23 Depth=1
	s_or_b64 exec, exec, s[6:7]
	v_cmp_le_i32_e32 vcc, s14, v3
	; wave barrier
	s_nop 1
	v_cndmask_b32_e64 v0, 0, 1, vcc
	; wave barrier
	ds_write_b32 v18, v0
	s_waitcnt lgkmcnt(0)
	; wave barrier
	s_and_saveexec_b64 s[6:7], s[2:3]
	s_cbranch_execz .LBB20_60
; %bb.59:                               ;   in Loop: Header=BB20_23 Depth=1
	ds_read2_b32 v[0:1], v23 offset1:2
	s_waitcnt lgkmcnt(0)
	v_add_u32_e32 v0, v1, v0
	ds_write_b32 v23, v0
.LBB20_60:                              ;   in Loop: Header=BB20_23 Depth=1
	s_or_b64 exec, exec, s[6:7]
	s_waitcnt lgkmcnt(0)
	; wave barrier
	s_and_saveexec_b64 s[6:7], s[4:5]
	s_cbranch_execz .LBB20_22
; %bb.61:                               ;   in Loop: Header=BB20_23 Depth=1
	ds_read_b64 v[0:1], v8 offset:512
	s_waitcnt lgkmcnt(0)
	v_add_u32_e32 v0, v1, v0
	ds_write_b32 v8, v0 offset:512
	s_branch .LBB20_22
.LBB20_62:                              ;   in Loop: Header=BB20_23 Depth=1
	s_branch .LBB20_57
.LBB20_63:
	s_and_b64 vcc, exec, s[4:5]
	s_mov_b32 s22, s12
	s_cbranch_vccnz .LBB20_4
.LBB20_64:
	s_load_dword s22, s[12:13], 0x0
	s_load_dwordx2 s[6:7], s[0:1], 0x18
	s_and_b64 vcc, exec, s[4:5]
	s_mov_b32 s23, s13
	s_cbranch_vccz .LBB20_5
	s_branch .LBB20_6
.LBB20_65:
	s_endpgm
	.section	.rodata,"a",@progbits
	.p2align	6, 0x0
	.amdhsa_kernel _ZN9rocsparseL35bsrgeam_wf_per_row_multipass_kernelILj64ELj4E21rocsparse_complex_numIfEEEv20rocsparse_direction_iiiNS_24const_host_device_scalarIT1_EEPKiS8_PKS5_S6_S8_S8_SA_S8_PiPS5_21rocsparse_index_base_SD_SD_b
		.amdhsa_group_segment_fixed_size 544
		.amdhsa_private_segment_fixed_size 0
		.amdhsa_kernarg_size 120
		.amdhsa_user_sgpr_count 2
		.amdhsa_user_sgpr_dispatch_ptr 0
		.amdhsa_user_sgpr_queue_ptr 0
		.amdhsa_user_sgpr_kernarg_segment_ptr 1
		.amdhsa_user_sgpr_dispatch_id 0
		.amdhsa_user_sgpr_kernarg_preload_length 0
		.amdhsa_user_sgpr_kernarg_preload_offset 0
		.amdhsa_user_sgpr_private_segment_size 0
		.amdhsa_uses_dynamic_stack 0
		.amdhsa_enable_private_segment 0
		.amdhsa_system_sgpr_workgroup_id_x 1
		.amdhsa_system_sgpr_workgroup_id_y 0
		.amdhsa_system_sgpr_workgroup_id_z 0
		.amdhsa_system_sgpr_workgroup_info 0
		.amdhsa_system_vgpr_workitem_id 0
		.amdhsa_next_free_vgpr 30
		.amdhsa_next_free_sgpr 46
		.amdhsa_accum_offset 32
		.amdhsa_reserve_vcc 1
		.amdhsa_float_round_mode_32 0
		.amdhsa_float_round_mode_16_64 0
		.amdhsa_float_denorm_mode_32 3
		.amdhsa_float_denorm_mode_16_64 3
		.amdhsa_dx10_clamp 1
		.amdhsa_ieee_mode 1
		.amdhsa_fp16_overflow 0
		.amdhsa_tg_split 0
		.amdhsa_exception_fp_ieee_invalid_op 0
		.amdhsa_exception_fp_denorm_src 0
		.amdhsa_exception_fp_ieee_div_zero 0
		.amdhsa_exception_fp_ieee_overflow 0
		.amdhsa_exception_fp_ieee_underflow 0
		.amdhsa_exception_fp_ieee_inexact 0
		.amdhsa_exception_int_div_zero 0
	.end_amdhsa_kernel
	.section	.text._ZN9rocsparseL35bsrgeam_wf_per_row_multipass_kernelILj64ELj4E21rocsparse_complex_numIfEEEv20rocsparse_direction_iiiNS_24const_host_device_scalarIT1_EEPKiS8_PKS5_S6_S8_S8_SA_S8_PiPS5_21rocsparse_index_base_SD_SD_b,"axG",@progbits,_ZN9rocsparseL35bsrgeam_wf_per_row_multipass_kernelILj64ELj4E21rocsparse_complex_numIfEEEv20rocsparse_direction_iiiNS_24const_host_device_scalarIT1_EEPKiS8_PKS5_S6_S8_S8_SA_S8_PiPS5_21rocsparse_index_base_SD_SD_b,comdat
.Lfunc_end20:
	.size	_ZN9rocsparseL35bsrgeam_wf_per_row_multipass_kernelILj64ELj4E21rocsparse_complex_numIfEEEv20rocsparse_direction_iiiNS_24const_host_device_scalarIT1_EEPKiS8_PKS5_S6_S8_S8_SA_S8_PiPS5_21rocsparse_index_base_SD_SD_b, .Lfunc_end20-_ZN9rocsparseL35bsrgeam_wf_per_row_multipass_kernelILj64ELj4E21rocsparse_complex_numIfEEEv20rocsparse_direction_iiiNS_24const_host_device_scalarIT1_EEPKiS8_PKS5_S6_S8_S8_SA_S8_PiPS5_21rocsparse_index_base_SD_SD_b
                                        ; -- End function
	.set _ZN9rocsparseL35bsrgeam_wf_per_row_multipass_kernelILj64ELj4E21rocsparse_complex_numIfEEEv20rocsparse_direction_iiiNS_24const_host_device_scalarIT1_EEPKiS8_PKS5_S6_S8_S8_SA_S8_PiPS5_21rocsparse_index_base_SD_SD_b.num_vgpr, 30
	.set _ZN9rocsparseL35bsrgeam_wf_per_row_multipass_kernelILj64ELj4E21rocsparse_complex_numIfEEEv20rocsparse_direction_iiiNS_24const_host_device_scalarIT1_EEPKiS8_PKS5_S6_S8_S8_SA_S8_PiPS5_21rocsparse_index_base_SD_SD_b.num_agpr, 0
	.set _ZN9rocsparseL35bsrgeam_wf_per_row_multipass_kernelILj64ELj4E21rocsparse_complex_numIfEEEv20rocsparse_direction_iiiNS_24const_host_device_scalarIT1_EEPKiS8_PKS5_S6_S8_S8_SA_S8_PiPS5_21rocsparse_index_base_SD_SD_b.numbered_sgpr, 46
	.set _ZN9rocsparseL35bsrgeam_wf_per_row_multipass_kernelILj64ELj4E21rocsparse_complex_numIfEEEv20rocsparse_direction_iiiNS_24const_host_device_scalarIT1_EEPKiS8_PKS5_S6_S8_S8_SA_S8_PiPS5_21rocsparse_index_base_SD_SD_b.num_named_barrier, 0
	.set _ZN9rocsparseL35bsrgeam_wf_per_row_multipass_kernelILj64ELj4E21rocsparse_complex_numIfEEEv20rocsparse_direction_iiiNS_24const_host_device_scalarIT1_EEPKiS8_PKS5_S6_S8_S8_SA_S8_PiPS5_21rocsparse_index_base_SD_SD_b.private_seg_size, 0
	.set _ZN9rocsparseL35bsrgeam_wf_per_row_multipass_kernelILj64ELj4E21rocsparse_complex_numIfEEEv20rocsparse_direction_iiiNS_24const_host_device_scalarIT1_EEPKiS8_PKS5_S6_S8_S8_SA_S8_PiPS5_21rocsparse_index_base_SD_SD_b.uses_vcc, 1
	.set _ZN9rocsparseL35bsrgeam_wf_per_row_multipass_kernelILj64ELj4E21rocsparse_complex_numIfEEEv20rocsparse_direction_iiiNS_24const_host_device_scalarIT1_EEPKiS8_PKS5_S6_S8_S8_SA_S8_PiPS5_21rocsparse_index_base_SD_SD_b.uses_flat_scratch, 0
	.set _ZN9rocsparseL35bsrgeam_wf_per_row_multipass_kernelILj64ELj4E21rocsparse_complex_numIfEEEv20rocsparse_direction_iiiNS_24const_host_device_scalarIT1_EEPKiS8_PKS5_S6_S8_S8_SA_S8_PiPS5_21rocsparse_index_base_SD_SD_b.has_dyn_sized_stack, 0
	.set _ZN9rocsparseL35bsrgeam_wf_per_row_multipass_kernelILj64ELj4E21rocsparse_complex_numIfEEEv20rocsparse_direction_iiiNS_24const_host_device_scalarIT1_EEPKiS8_PKS5_S6_S8_S8_SA_S8_PiPS5_21rocsparse_index_base_SD_SD_b.has_recursion, 0
	.set _ZN9rocsparseL35bsrgeam_wf_per_row_multipass_kernelILj64ELj4E21rocsparse_complex_numIfEEEv20rocsparse_direction_iiiNS_24const_host_device_scalarIT1_EEPKiS8_PKS5_S6_S8_S8_SA_S8_PiPS5_21rocsparse_index_base_SD_SD_b.has_indirect_call, 0
	.section	.AMDGPU.csdata,"",@progbits
; Kernel info:
; codeLenInByte = 1908
; TotalNumSgprs: 52
; NumVgprs: 30
; NumAgprs: 0
; TotalNumVgprs: 30
; ScratchSize: 0
; MemoryBound: 0
; FloatMode: 240
; IeeeMode: 1
; LDSByteSize: 544 bytes/workgroup (compile time only)
; SGPRBlocks: 6
; VGPRBlocks: 3
; NumSGPRsForWavesPerEU: 52
; NumVGPRsForWavesPerEU: 30
; AccumOffset: 32
; Occupancy: 8
; WaveLimiterHint : 0
; COMPUTE_PGM_RSRC2:SCRATCH_EN: 0
; COMPUTE_PGM_RSRC2:USER_SGPR: 2
; COMPUTE_PGM_RSRC2:TRAP_HANDLER: 0
; COMPUTE_PGM_RSRC2:TGID_X_EN: 1
; COMPUTE_PGM_RSRC2:TGID_Y_EN: 0
; COMPUTE_PGM_RSRC2:TGID_Z_EN: 0
; COMPUTE_PGM_RSRC2:TIDIG_COMP_CNT: 0
; COMPUTE_PGM_RSRC3_GFX90A:ACCUM_OFFSET: 7
; COMPUTE_PGM_RSRC3_GFX90A:TG_SPLIT: 0
	.section	.text._ZN9rocsparseL35bsrgeam_wf_per_row_multipass_kernelILj64ELj8E21rocsparse_complex_numIfEEEv20rocsparse_direction_iiiNS_24const_host_device_scalarIT1_EEPKiS8_PKS5_S6_S8_S8_SA_S8_PiPS5_21rocsparse_index_base_SD_SD_b,"axG",@progbits,_ZN9rocsparseL35bsrgeam_wf_per_row_multipass_kernelILj64ELj8E21rocsparse_complex_numIfEEEv20rocsparse_direction_iiiNS_24const_host_device_scalarIT1_EEPKiS8_PKS5_S6_S8_S8_SA_S8_PiPS5_21rocsparse_index_base_SD_SD_b,comdat
	.globl	_ZN9rocsparseL35bsrgeam_wf_per_row_multipass_kernelILj64ELj8E21rocsparse_complex_numIfEEEv20rocsparse_direction_iiiNS_24const_host_device_scalarIT1_EEPKiS8_PKS5_S6_S8_S8_SA_S8_PiPS5_21rocsparse_index_base_SD_SD_b ; -- Begin function _ZN9rocsparseL35bsrgeam_wf_per_row_multipass_kernelILj64ELj8E21rocsparse_complex_numIfEEEv20rocsparse_direction_iiiNS_24const_host_device_scalarIT1_EEPKiS8_PKS5_S6_S8_S8_SA_S8_PiPS5_21rocsparse_index_base_SD_SD_b
	.p2align	8
	.type	_ZN9rocsparseL35bsrgeam_wf_per_row_multipass_kernelILj64ELj8E21rocsparse_complex_numIfEEEv20rocsparse_direction_iiiNS_24const_host_device_scalarIT1_EEPKiS8_PKS5_S6_S8_S8_SA_S8_PiPS5_21rocsparse_index_base_SD_SD_b,@function
_ZN9rocsparseL35bsrgeam_wf_per_row_multipass_kernelILj64ELj8E21rocsparse_complex_numIfEEEv20rocsparse_direction_iiiNS_24const_host_device_scalarIT1_EEPKiS8_PKS5_S6_S8_S8_SA_S8_PiPS5_21rocsparse_index_base_SD_SD_b: ; @_ZN9rocsparseL35bsrgeam_wf_per_row_multipass_kernelILj64ELj8E21rocsparse_complex_numIfEEEv20rocsparse_direction_iiiNS_24const_host_device_scalarIT1_EEPKiS8_PKS5_S6_S8_S8_SA_S8_PiPS5_21rocsparse_index_base_SD_SD_b
; %bb.0:
	s_load_dwordx4 s[8:11], s[0:1], 0x68
	s_load_dwordx2 s[12:13], s[0:1], 0x10
	s_load_dwordx2 s[6:7], s[0:1], 0x30
	s_waitcnt lgkmcnt(0)
	s_bitcmp1_b32 s11, 0
	s_cselect_b64 s[4:5], -1, 0
	s_xor_b64 s[14:15], s[4:5], -1
	s_and_b64 vcc, exec, s[4:5]
	s_mov_b32 s16, s12
	s_cbranch_vccnz .LBB21_2
; %bb.1:
	s_load_dword s16, s[12:13], 0x0
.LBB21_2:
	v_cndmask_b32_e64 v1, 0, 1, s[14:15]
	v_cmp_ne_u32_e64 s[4:5], 1, v1
	s_andn2_b64 vcc, exec, s[14:15]
	s_mov_b32 s17, s13
	s_cbranch_vccnz .LBB21_22
; %bb.3:
	s_load_dword s17, s[12:13], 0x4
	s_and_b64 vcc, exec, s[4:5]
	s_mov_b32 s18, s6
	s_cbranch_vccz .LBB21_23
.LBB21_4:
	s_load_dwordx2 s[20:21], s[0:1], 0x18
	s_and_b64 vcc, exec, s[4:5]
	s_mov_b32 s19, s7
	s_cbranch_vccnz .LBB21_6
.LBB21_5:
	s_load_dword s19, s[6:7], 0x4
.LBB21_6:
	s_nop 0
	s_load_dwordx4 s[4:7], s[0:1], 0x0
	v_mov_b32_e32 v11, 0
	v_mov_b32_e32 v8, s2
	;; [unrolled: 1-line block ×3, first 2 shown]
	s_waitcnt lgkmcnt(0)
	s_cmp_ge_i32 s2, s5
	s_cselect_b64 s[12:13], -1, 0
	s_cmp_lt_i32 s2, s5
	s_cselect_b64 s[14:15], -1, 0
	s_and_saveexec_b64 s[22:23], s[14:15]
	s_cbranch_execz .LBB21_8
; %bb.7:
	v_ashrrev_i32_e64 v9, 31, s2
	v_lshl_add_u64 v[2:3], v[8:9], 2, s[20:21]
	global_load_dword v1, v[2:3], off
	s_waitcnt vmcnt(0)
	v_subrev_u32_e32 v2, s8, v1
.LBB21_8:
	s_or_b64 exec, exec, s[22:23]
	s_load_dwordx2 s[22:23], s[0:1], 0x38
	s_and_saveexec_b64 s[24:25], s[14:15]
	s_cbranch_execz .LBB21_10
; %bb.9:
	v_ashrrev_i32_e64 v9, 31, s2
	v_lshl_add_u64 v[4:5], v[8:9], 2, s[20:21]
	global_load_dword v1, v[4:5], off offset:4
	s_waitcnt vmcnt(0)
	v_subrev_u32_e32 v11, s8, v1
.LBB21_10:
	s_or_b64 exec, exec, s[24:25]
	v_mov_b32_e32 v13, 0
	v_mov_b32_e32 v4, 0
	s_and_saveexec_b64 s[20:21], s[14:15]
	s_cbranch_execz .LBB21_12
; %bb.11:
	v_ashrrev_i32_e64 v9, 31, s2
	s_waitcnt lgkmcnt(0)
	v_lshl_add_u64 v[4:5], v[8:9], 2, s[22:23]
	global_load_dword v1, v[4:5], off
	s_waitcnt vmcnt(0)
	v_subrev_u32_e32 v4, s9, v1
.LBB21_12:
	s_or_b64 exec, exec, s[20:21]
	s_and_saveexec_b64 s[20:21], s[14:15]
	s_cbranch_execz .LBB21_14
; %bb.13:
	v_ashrrev_i32_e64 v9, 31, s2
	s_waitcnt lgkmcnt(0)
	v_lshl_add_u64 v[6:7], v[8:9], 2, s[22:23]
	global_load_dword v1, v[6:7], off offset:4
	s_waitcnt vmcnt(0)
	v_subrev_u32_e32 v13, s9, v1
.LBB21_14:
	s_or_b64 exec, exec, s[20:21]
	s_load_dwordx2 s[20:21], s[0:1], 0x20
	v_mov_b32_e32 v6, 0
	s_waitcnt lgkmcnt(0)
	s_and_saveexec_b64 s[22:23], s[14:15]
	s_cbranch_execz .LBB21_16
; %bb.15:
	s_load_dwordx2 s[14:15], s[0:1], 0x50
	v_ashrrev_i32_e64 v9, 31, s2
	s_waitcnt lgkmcnt(0)
	v_lshl_add_u64 v[6:7], v[8:9], 2, s[14:15]
	global_load_dword v1, v[6:7], off
	s_waitcnt vmcnt(0)
	v_subrev_u32_e32 v6, s10, v1
.LBB21_16:
	s_or_b64 exec, exec, s[22:23]
	s_load_dwordx2 s[22:23], s[0:1], 0x40
	v_cmp_lt_i32_e32 vcc, v2, v11
	v_mov_b32_e32 v1, s6
	s_and_saveexec_b64 s[2:3], vcc
	s_cbranch_execz .LBB21_18
; %bb.17:
	v_ashrrev_i32_e32 v3, 31, v2
	v_lshl_add_u64 v[8:9], v[2:3], 2, s[20:21]
	global_load_dword v1, v[8:9], off
	s_waitcnt vmcnt(0)
	v_subrev_u32_e32 v1, s8, v1
.LBB21_18:
	s_or_b64 exec, exec, s[2:3]
	v_cmp_lt_i32_e32 vcc, v4, v13
	v_mov_b32_e32 v3, s6
	s_and_saveexec_b64 s[2:3], vcc
	s_cbranch_execz .LBB21_20
; %bb.19:
	v_ashrrev_i32_e32 v5, 31, v4
	s_waitcnt lgkmcnt(0)
	v_lshl_add_u64 v[8:9], v[4:5], 2, s[22:23]
	global_load_dword v3, v[8:9], off
	s_waitcnt vmcnt(0)
	v_subrev_u32_e32 v3, s9, v3
.LBB21_20:
	s_or_b64 exec, exec, s[2:3]
	v_cndmask_b32_e64 v5, 0, 1, s[12:13]
	v_mov_b32_e32 v8, 0
	ds_write_b32 v8, v5 offset:512
	s_waitcnt lgkmcnt(0)
	; wave barrier
	ds_read_b32 v5, v8 offset:512
	s_waitcnt lgkmcnt(0)
	v_cmp_ne_u32_e32 vcc, 0, v5
	s_cbranch_vccz .LBB21_24
.LBB21_21:
	s_endpgm
.LBB21_22:
	s_and_b64 vcc, exec, s[4:5]
	s_mov_b32 s18, s6
	s_cbranch_vccnz .LBB21_4
.LBB21_23:
	s_load_dword s18, s[6:7], 0x0
	s_load_dwordx2 s[20:21], s[0:1], 0x18
	s_and_b64 vcc, exec, s[4:5]
	s_mov_b32 s19, s7
	s_cbranch_vccz .LBB21_5
	s_branch .LBB21_6
.LBB21_24:
	s_load_dwordx4 s[12:15], s[0:1], 0x58
	s_load_dwordx2 s[24:25], s[0:1], 0x28
	s_load_dwordx2 s[26:27], s[0:1], 0x48
	v_and_b32_e32 v10, 7, v0
	v_lshrrev_b32_e32 v12, 3, v0
	v_min_i32_e32 v3, v3, v1
	v_max_i32_e32 v1, v12, v10
	v_lshlrev_b32_e32 v20, 3, v0
	v_cmp_gt_i32_e64 s[0:1], s7, v1
	s_cmp_lg_u32 s4, 0
	v_lshlrev_b32_e32 v1, 3, v10
	v_and_b32_e32 v0, 56, v0
	v_mov_b32_e32 v18, 0x200
	v_mov_b32_e32 v19, 0x204
	s_cselect_b64 s[4:5], -1, 0
	s_xor_b32 s28, s17, 0x80000000
	v_lshl_or_b32 v21, v12, 6, v1
	v_lshl_or_b32 v22, v10, 6, v0
	s_xor_b32 s30, s19, 0x80000000
	s_mov_b32 s29, s16
	s_mov_b32 s31, s18
	s_mul_i32 s11, s7, s7
	v_mov_b32_e32 v9, v8
	v_mov_b32_e32 v23, 1
	s_branch .LBB21_27
.LBB21_25:                              ;   in Loop: Header=BB21_27 Depth=1
	v_add_u32_e32 v5, v0, v10
	ds_read_b64 v[0:1], v22
	v_mad_u64_u32 v[14:15], s[34:35], v5, s7, v[12:13]
	v_ashrrev_i32_e32 v15, 31, v14
	v_lshl_add_u64 v[14:15], v[14:15], 3, s[14:15]
	s_waitcnt lgkmcnt(0)
	global_store_dwordx2 v[14:15], v[0:1], off
.LBB21_26:                              ;   in Loop: Header=BB21_27 Depth=1
	s_or_b64 exec, exec, s[2:3]
	v_cmp_le_i32_e32 vcc, s6, v3
	; wave barrier
	s_nop 1
	v_cndmask_b32_e64 v0, 0, 1, vcc
	; wave barrier
	ds_write_b32 v18, v0
	s_waitcnt lgkmcnt(0)
	; wave barrier
	ds_read_b32 v0, v8 offset:512
	v_add_u32_e32 v6, 1, v6
	s_waitcnt lgkmcnt(0)
	v_cmp_eq_u32_e32 vcc, 0, v0
	s_cbranch_vccz .LBB21_21
.LBB21_27:                              ; =>This Loop Header: Depth=1
                                        ;     Child Loop BB21_30 Depth 2
                                        ;     Child Loop BB21_45 Depth 2
	v_mov_b32_e32 v7, v3
	v_cmp_lt_i32_e32 vcc, v2, v11
	v_mov_b32_e32 v3, s6
	ds_write_b32 v19, v8
	ds_write_b64 v20, v[8:9]
	s_waitcnt lgkmcnt(0)
	; wave barrier
	s_and_saveexec_b64 s[34:35], vcc
	s_cbranch_execz .LBB21_42
; %bb.28:                               ;   in Loop: Header=BB21_27 Depth=1
	v_mul_lo_u32 v3, s7, v2
	v_add_u32_e32 v0, v10, v3
	v_mad_u64_u32 v[0:1], s[2:3], s7, v0, v[12:13]
	v_add_u32_e32 v1, v12, v3
	v_ashrrev_i32_e32 v3, 31, v2
	v_mad_u64_u32 v[14:15], s[2:3], s7, v1, v[10:11]
	v_lshl_add_u64 v[16:17], v[2:3], 2, s[20:21]
	s_mov_b64 s[36:37], 0
	v_mov_b32_e32 v1, 0
	v_mov_b32_e32 v3, s6
	s_branch .LBB21_30
.LBB21_29:                              ;   in Loop: Header=BB21_30 Depth=2
	s_or_b64 exec, exec, s[40:41]
	s_and_b64 s[2:3], exec, s[38:39]
	v_mov_b32_e32 v15, v2
	s_or_b64 s[36:37], s[2:3], s[36:37]
	v_mov_b32_e32 v2, v5
	s_andn2_b64 exec, exec, s[36:37]
	s_cbranch_execz .LBB21_41
.LBB21_30:                              ;   Parent Loop BB21_27 Depth=1
                                        ; =>  This Inner Loop Header: Depth=2
	global_load_dword v5, v[16:17], off
	s_waitcnt vmcnt(0)
	v_subrev_u32_e32 v5, s8, v5
	v_cmp_le_i32_e64 s[2:3], v5, v7
	s_and_saveexec_b64 s[38:39], s[2:3]
	s_xor_b64 s[38:39], exec, s[38:39]
	s_cbranch_execz .LBB21_36
; %bb.31:                               ;   in Loop: Header=BB21_30 Depth=2
	ds_write_b32 v19, v23
	s_and_saveexec_b64 s[40:41], s[0:1]
	s_cbranch_execz .LBB21_35
; %bb.32:                               ;   in Loop: Header=BB21_30 Depth=2
	s_and_b64 vcc, exec, s[4:5]
	s_cbranch_vccz .LBB21_40
; %bb.33:                               ;   in Loop: Header=BB21_30 Depth=2
	v_add_u32_e32 v24, v14, v1
	v_ashrrev_i32_e32 v25, 31, v24
	v_lshl_add_u64 v[24:25], v[24:25], 3, s[24:25]
	global_load_dwordx2 v[24:25], v[24:25], off
	s_waitcnt vmcnt(0)
	v_pk_mul_f32 v[26:27], v[24:25], s[28:29] op_sel:[1,0]
	s_nop 0
	v_pk_fma_f32 v[24:25], s[16:17], v[24:25], v[26:27] op_sel_hi:[1,0,1]
	ds_write_b64 v21, v[24:25]
	s_cbranch_execnz .LBB21_35
.LBB21_34:                              ;   in Loop: Header=BB21_30 Depth=2
	v_add_u32_e32 v24, v0, v1
	v_ashrrev_i32_e32 v25, 31, v24
	v_lshl_add_u64 v[24:25], v[24:25], 3, s[24:25]
	global_load_dwordx2 v[24:25], v[24:25], off
	s_waitcnt vmcnt(0)
	v_pk_mul_f32 v[26:27], v[24:25], s[28:29] op_sel:[1,0]
	s_nop 0
	v_pk_fma_f32 v[24:25], s[16:17], v[24:25], v[26:27] op_sel_hi:[1,0,1]
	ds_write_b64 v22, v[24:25]
.LBB21_35:                              ;   in Loop: Header=BB21_30 Depth=2
	s_or_b64 exec, exec, s[40:41]
                                        ; implicit-def: $vgpr5
	s_andn2_saveexec_b64 s[38:39], s[38:39]
	s_branch .LBB21_37
.LBB21_36:                              ;   in Loop: Header=BB21_30 Depth=2
	s_andn2_saveexec_b64 s[38:39], s[38:39]
.LBB21_37:                              ;   in Loop: Header=BB21_30 Depth=2
	v_min_i32_e32 v3, v5, v3
; %bb.38:                               ;   in Loop: Header=BB21_30 Depth=2
	s_or_b64 exec, exec, s[38:39]
	s_mov_b64 s[38:39], -1
                                        ; implicit-def: $vgpr5
	s_and_saveexec_b64 s[40:41], s[2:3]
	s_cbranch_execz .LBB21_29
; %bb.39:                               ;   in Loop: Header=BB21_30 Depth=2
	v_add_u32_e32 v5, 1, v2
	v_cmp_ge_i32_e32 vcc, v5, v11
	v_add_u32_e32 v1, s11, v1
	v_lshl_add_u64 v[16:17], v[16:17], 0, 4
	s_orn2_b64 s[38:39], vcc, exec
	v_mov_b32_e32 v2, v11
	s_branch .LBB21_29
.LBB21_40:                              ;   in Loop: Header=BB21_30 Depth=2
	s_branch .LBB21_34
.LBB21_41:                              ;   in Loop: Header=BB21_27 Depth=1
	s_or_b64 exec, exec, s[36:37]
	v_mov_b32_e32 v2, v15
.LBB21_42:                              ;   in Loop: Header=BB21_27 Depth=1
	s_or_b64 exec, exec, s[34:35]
	v_cmp_lt_i32_e32 vcc, v4, v13
	s_waitcnt lgkmcnt(0)
	; wave barrier
	s_and_saveexec_b64 s[34:35], vcc
	s_cbranch_execz .LBB21_57
; %bb.43:                               ;   in Loop: Header=BB21_27 Depth=1
	v_mul_lo_u32 v5, s7, v4
	v_add_u32_e32 v0, v10, v5
	v_mad_u64_u32 v[0:1], s[2:3], s7, v0, v[12:13]
	v_add_u32_e32 v1, v12, v5
	v_ashrrev_i32_e32 v5, 31, v4
	v_mad_u64_u32 v[14:15], s[2:3], s7, v1, v[10:11]
	v_lshl_add_u64 v[16:17], v[4:5], 2, s[22:23]
	s_mov_b64 s[36:37], 0
	v_mov_b32_e32 v1, 0
	s_branch .LBB21_45
.LBB21_44:                              ;   in Loop: Header=BB21_45 Depth=2
	s_or_b64 exec, exec, s[40:41]
	s_and_b64 s[2:3], exec, s[38:39]
	v_mov_b32_e32 v15, v4
	s_or_b64 s[36:37], s[2:3], s[36:37]
	v_mov_b32_e32 v4, v5
	s_andn2_b64 exec, exec, s[36:37]
	s_cbranch_execz .LBB21_56
.LBB21_45:                              ;   Parent Loop BB21_27 Depth=1
                                        ; =>  This Inner Loop Header: Depth=2
	global_load_dword v5, v[16:17], off
	s_waitcnt vmcnt(0)
	v_subrev_u32_e32 v5, s9, v5
	v_cmp_le_i32_e64 s[2:3], v5, v7
	s_and_saveexec_b64 s[38:39], s[2:3]
	s_xor_b64 s[38:39], exec, s[38:39]
	s_cbranch_execz .LBB21_51
; %bb.46:                               ;   in Loop: Header=BB21_45 Depth=2
	ds_write_b32 v19, v23
	s_and_saveexec_b64 s[40:41], s[0:1]
	s_cbranch_execz .LBB21_50
; %bb.47:                               ;   in Loop: Header=BB21_45 Depth=2
	s_and_b64 vcc, exec, s[4:5]
	s_cbranch_vccz .LBB21_55
; %bb.48:                               ;   in Loop: Header=BB21_45 Depth=2
	v_add_u32_e32 v24, v14, v1
	v_ashrrev_i32_e32 v25, 31, v24
	v_lshl_add_u64 v[24:25], v[24:25], 3, s[26:27]
	global_load_dwordx2 v[24:25], v[24:25], off
	ds_read_b64 v[26:27], v21
	s_waitcnt vmcnt(0) lgkmcnt(0)
	v_pk_fma_f32 v[26:27], s[18:19], v[24:25], v[26:27] op_sel_hi:[1,0,1]
	s_nop 0
	v_pk_fma_f32 v[24:25], s[30:31], v[24:25], v[26:27] op_sel:[0,1,0]
	ds_write_b64 v21, v[24:25]
	s_cbranch_execnz .LBB21_50
.LBB21_49:                              ;   in Loop: Header=BB21_45 Depth=2
	v_add_u32_e32 v24, v0, v1
	v_ashrrev_i32_e32 v25, 31, v24
	v_lshl_add_u64 v[24:25], v[24:25], 3, s[26:27]
	global_load_dwordx2 v[24:25], v[24:25], off
	ds_read_b64 v[26:27], v22
	s_waitcnt vmcnt(0) lgkmcnt(0)
	v_pk_fma_f32 v[26:27], s[18:19], v[24:25], v[26:27] op_sel_hi:[1,0,1]
	s_nop 0
	v_pk_fma_f32 v[24:25], s[30:31], v[24:25], v[26:27] op_sel:[0,1,0]
	ds_write_b64 v22, v[24:25]
.LBB21_50:                              ;   in Loop: Header=BB21_45 Depth=2
	s_or_b64 exec, exec, s[40:41]
                                        ; implicit-def: $vgpr5
	s_andn2_saveexec_b64 s[38:39], s[38:39]
	s_branch .LBB21_52
.LBB21_51:                              ;   in Loop: Header=BB21_45 Depth=2
	s_andn2_saveexec_b64 s[38:39], s[38:39]
.LBB21_52:                              ;   in Loop: Header=BB21_45 Depth=2
	v_min_i32_e32 v3, v5, v3
; %bb.53:                               ;   in Loop: Header=BB21_45 Depth=2
	s_or_b64 exec, exec, s[38:39]
	s_mov_b64 s[38:39], -1
                                        ; implicit-def: $vgpr5
	s_and_saveexec_b64 s[40:41], s[2:3]
	s_cbranch_execz .LBB21_44
; %bb.54:                               ;   in Loop: Header=BB21_45 Depth=2
	v_add_u32_e32 v5, 1, v4
	v_cmp_ge_i32_e32 vcc, v5, v13
	v_add_u32_e32 v1, s11, v1
	v_lshl_add_u64 v[16:17], v[16:17], 0, 4
	s_orn2_b64 s[38:39], vcc, exec
	v_mov_b32_e32 v4, v13
	s_branch .LBB21_44
.LBB21_55:                              ;   in Loop: Header=BB21_45 Depth=2
	s_branch .LBB21_49
.LBB21_56:                              ;   in Loop: Header=BB21_27 Depth=1
	s_or_b64 exec, exec, s[36:37]
	v_mov_b32_e32 v4, v15
.LBB21_57:                              ;   in Loop: Header=BB21_27 Depth=1
	s_or_b64 exec, exec, s[34:35]
	s_waitcnt lgkmcnt(0)
	; wave barrier
	ds_read_b32 v0, v19
	s_waitcnt lgkmcnt(0)
	v_cmp_ne_u32_e32 vcc, 0, v0
	s_and_saveexec_b64 s[2:3], vcc
	s_cbranch_execz .LBB21_26
; %bb.58:                               ;   in Loop: Header=BB21_27 Depth=1
	v_add_u32_e32 v5, s10, v7
	v_ashrrev_i32_e32 v7, 31, v6
	v_lshl_add_u64 v[0:1], v[6:7], 2, s[12:13]
	global_store_dword v[0:1], v5, off
	s_and_b64 exec, exec, s[0:1]
	s_cbranch_execz .LBB21_26
; %bb.59:                               ;   in Loop: Header=BB21_27 Depth=1
	v_mul_lo_u32 v0, v6, s7
	s_and_b64 vcc, exec, s[4:5]
	s_cbranch_vccz .LBB21_61
; %bb.60:                               ;   in Loop: Header=BB21_27 Depth=1
	ds_read_b64 v[14:15], v21
	v_add_u32_e32 v1, v0, v12
	v_mad_u64_u32 v[16:17], s[34:35], v1, s7, v[10:11]
	v_ashrrev_i32_e32 v17, 31, v16
	v_lshl_add_u64 v[16:17], v[16:17], 3, s[14:15]
	s_waitcnt lgkmcnt(0)
	global_store_dwordx2 v[16:17], v[14:15], off
	s_cbranch_execnz .LBB21_26
	s_branch .LBB21_25
.LBB21_61:                              ;   in Loop: Header=BB21_27 Depth=1
	s_branch .LBB21_25
	.section	.rodata,"a",@progbits
	.p2align	6, 0x0
	.amdhsa_kernel _ZN9rocsparseL35bsrgeam_wf_per_row_multipass_kernelILj64ELj8E21rocsparse_complex_numIfEEEv20rocsparse_direction_iiiNS_24const_host_device_scalarIT1_EEPKiS8_PKS5_S6_S8_S8_SA_S8_PiPS5_21rocsparse_index_base_SD_SD_b
		.amdhsa_group_segment_fixed_size 520
		.amdhsa_private_segment_fixed_size 0
		.amdhsa_kernarg_size 120
		.amdhsa_user_sgpr_count 2
		.amdhsa_user_sgpr_dispatch_ptr 0
		.amdhsa_user_sgpr_queue_ptr 0
		.amdhsa_user_sgpr_kernarg_segment_ptr 1
		.amdhsa_user_sgpr_dispatch_id 0
		.amdhsa_user_sgpr_kernarg_preload_length 0
		.amdhsa_user_sgpr_kernarg_preload_offset 0
		.amdhsa_user_sgpr_private_segment_size 0
		.amdhsa_uses_dynamic_stack 0
		.amdhsa_enable_private_segment 0
		.amdhsa_system_sgpr_workgroup_id_x 1
		.amdhsa_system_sgpr_workgroup_id_y 0
		.amdhsa_system_sgpr_workgroup_id_z 0
		.amdhsa_system_sgpr_workgroup_info 0
		.amdhsa_system_vgpr_workitem_id 0
		.amdhsa_next_free_vgpr 28
		.amdhsa_next_free_sgpr 42
		.amdhsa_accum_offset 28
		.amdhsa_reserve_vcc 1
		.amdhsa_float_round_mode_32 0
		.amdhsa_float_round_mode_16_64 0
		.amdhsa_float_denorm_mode_32 3
		.amdhsa_float_denorm_mode_16_64 3
		.amdhsa_dx10_clamp 1
		.amdhsa_ieee_mode 1
		.amdhsa_fp16_overflow 0
		.amdhsa_tg_split 0
		.amdhsa_exception_fp_ieee_invalid_op 0
		.amdhsa_exception_fp_denorm_src 0
		.amdhsa_exception_fp_ieee_div_zero 0
		.amdhsa_exception_fp_ieee_overflow 0
		.amdhsa_exception_fp_ieee_underflow 0
		.amdhsa_exception_fp_ieee_inexact 0
		.amdhsa_exception_int_div_zero 0
	.end_amdhsa_kernel
	.section	.text._ZN9rocsparseL35bsrgeam_wf_per_row_multipass_kernelILj64ELj8E21rocsparse_complex_numIfEEEv20rocsparse_direction_iiiNS_24const_host_device_scalarIT1_EEPKiS8_PKS5_S6_S8_S8_SA_S8_PiPS5_21rocsparse_index_base_SD_SD_b,"axG",@progbits,_ZN9rocsparseL35bsrgeam_wf_per_row_multipass_kernelILj64ELj8E21rocsparse_complex_numIfEEEv20rocsparse_direction_iiiNS_24const_host_device_scalarIT1_EEPKiS8_PKS5_S6_S8_S8_SA_S8_PiPS5_21rocsparse_index_base_SD_SD_b,comdat
.Lfunc_end21:
	.size	_ZN9rocsparseL35bsrgeam_wf_per_row_multipass_kernelILj64ELj8E21rocsparse_complex_numIfEEEv20rocsparse_direction_iiiNS_24const_host_device_scalarIT1_EEPKiS8_PKS5_S6_S8_S8_SA_S8_PiPS5_21rocsparse_index_base_SD_SD_b, .Lfunc_end21-_ZN9rocsparseL35bsrgeam_wf_per_row_multipass_kernelILj64ELj8E21rocsparse_complex_numIfEEEv20rocsparse_direction_iiiNS_24const_host_device_scalarIT1_EEPKiS8_PKS5_S6_S8_S8_SA_S8_PiPS5_21rocsparse_index_base_SD_SD_b
                                        ; -- End function
	.set _ZN9rocsparseL35bsrgeam_wf_per_row_multipass_kernelILj64ELj8E21rocsparse_complex_numIfEEEv20rocsparse_direction_iiiNS_24const_host_device_scalarIT1_EEPKiS8_PKS5_S6_S8_S8_SA_S8_PiPS5_21rocsparse_index_base_SD_SD_b.num_vgpr, 28
	.set _ZN9rocsparseL35bsrgeam_wf_per_row_multipass_kernelILj64ELj8E21rocsparse_complex_numIfEEEv20rocsparse_direction_iiiNS_24const_host_device_scalarIT1_EEPKiS8_PKS5_S6_S8_S8_SA_S8_PiPS5_21rocsparse_index_base_SD_SD_b.num_agpr, 0
	.set _ZN9rocsparseL35bsrgeam_wf_per_row_multipass_kernelILj64ELj8E21rocsparse_complex_numIfEEEv20rocsparse_direction_iiiNS_24const_host_device_scalarIT1_EEPKiS8_PKS5_S6_S8_S8_SA_S8_PiPS5_21rocsparse_index_base_SD_SD_b.numbered_sgpr, 42
	.set _ZN9rocsparseL35bsrgeam_wf_per_row_multipass_kernelILj64ELj8E21rocsparse_complex_numIfEEEv20rocsparse_direction_iiiNS_24const_host_device_scalarIT1_EEPKiS8_PKS5_S6_S8_S8_SA_S8_PiPS5_21rocsparse_index_base_SD_SD_b.num_named_barrier, 0
	.set _ZN9rocsparseL35bsrgeam_wf_per_row_multipass_kernelILj64ELj8E21rocsparse_complex_numIfEEEv20rocsparse_direction_iiiNS_24const_host_device_scalarIT1_EEPKiS8_PKS5_S6_S8_S8_SA_S8_PiPS5_21rocsparse_index_base_SD_SD_b.private_seg_size, 0
	.set _ZN9rocsparseL35bsrgeam_wf_per_row_multipass_kernelILj64ELj8E21rocsparse_complex_numIfEEEv20rocsparse_direction_iiiNS_24const_host_device_scalarIT1_EEPKiS8_PKS5_S6_S8_S8_SA_S8_PiPS5_21rocsparse_index_base_SD_SD_b.uses_vcc, 1
	.set _ZN9rocsparseL35bsrgeam_wf_per_row_multipass_kernelILj64ELj8E21rocsparse_complex_numIfEEEv20rocsparse_direction_iiiNS_24const_host_device_scalarIT1_EEPKiS8_PKS5_S6_S8_S8_SA_S8_PiPS5_21rocsparse_index_base_SD_SD_b.uses_flat_scratch, 0
	.set _ZN9rocsparseL35bsrgeam_wf_per_row_multipass_kernelILj64ELj8E21rocsparse_complex_numIfEEEv20rocsparse_direction_iiiNS_24const_host_device_scalarIT1_EEPKiS8_PKS5_S6_S8_S8_SA_S8_PiPS5_21rocsparse_index_base_SD_SD_b.has_dyn_sized_stack, 0
	.set _ZN9rocsparseL35bsrgeam_wf_per_row_multipass_kernelILj64ELj8E21rocsparse_complex_numIfEEEv20rocsparse_direction_iiiNS_24const_host_device_scalarIT1_EEPKiS8_PKS5_S6_S8_S8_SA_S8_PiPS5_21rocsparse_index_base_SD_SD_b.has_recursion, 0
	.set _ZN9rocsparseL35bsrgeam_wf_per_row_multipass_kernelILj64ELj8E21rocsparse_complex_numIfEEEv20rocsparse_direction_iiiNS_24const_host_device_scalarIT1_EEPKiS8_PKS5_S6_S8_S8_SA_S8_PiPS5_21rocsparse_index_base_SD_SD_b.has_indirect_call, 0
	.section	.AMDGPU.csdata,"",@progbits
; Kernel info:
; codeLenInByte = 1788
; TotalNumSgprs: 48
; NumVgprs: 28
; NumAgprs: 0
; TotalNumVgprs: 28
; ScratchSize: 0
; MemoryBound: 0
; FloatMode: 240
; IeeeMode: 1
; LDSByteSize: 520 bytes/workgroup (compile time only)
; SGPRBlocks: 5
; VGPRBlocks: 3
; NumSGPRsForWavesPerEU: 48
; NumVGPRsForWavesPerEU: 28
; AccumOffset: 28
; Occupancy: 8
; WaveLimiterHint : 0
; COMPUTE_PGM_RSRC2:SCRATCH_EN: 0
; COMPUTE_PGM_RSRC2:USER_SGPR: 2
; COMPUTE_PGM_RSRC2:TRAP_HANDLER: 0
; COMPUTE_PGM_RSRC2:TGID_X_EN: 1
; COMPUTE_PGM_RSRC2:TGID_Y_EN: 0
; COMPUTE_PGM_RSRC2:TGID_Z_EN: 0
; COMPUTE_PGM_RSRC2:TIDIG_COMP_CNT: 0
; COMPUTE_PGM_RSRC3_GFX90A:ACCUM_OFFSET: 6
; COMPUTE_PGM_RSRC3_GFX90A:TG_SPLIT: 0
	.section	.text._ZN9rocsparseL39bsrgeam_block_per_row_multipass_kernel2ILj256ELj16E21rocsparse_complex_numIfEEEv20rocsparse_direction_iiiNS_24const_host_device_scalarIT1_EEPKiS8_PKS5_S6_S8_S8_SA_S8_PiPS5_21rocsparse_index_base_SD_SD_b,"axG",@progbits,_ZN9rocsparseL39bsrgeam_block_per_row_multipass_kernel2ILj256ELj16E21rocsparse_complex_numIfEEEv20rocsparse_direction_iiiNS_24const_host_device_scalarIT1_EEPKiS8_PKS5_S6_S8_S8_SA_S8_PiPS5_21rocsparse_index_base_SD_SD_b,comdat
	.globl	_ZN9rocsparseL39bsrgeam_block_per_row_multipass_kernel2ILj256ELj16E21rocsparse_complex_numIfEEEv20rocsparse_direction_iiiNS_24const_host_device_scalarIT1_EEPKiS8_PKS5_S6_S8_S8_SA_S8_PiPS5_21rocsparse_index_base_SD_SD_b ; -- Begin function _ZN9rocsparseL39bsrgeam_block_per_row_multipass_kernel2ILj256ELj16E21rocsparse_complex_numIfEEEv20rocsparse_direction_iiiNS_24const_host_device_scalarIT1_EEPKiS8_PKS5_S6_S8_S8_SA_S8_PiPS5_21rocsparse_index_base_SD_SD_b
	.p2align	8
	.type	_ZN9rocsparseL39bsrgeam_block_per_row_multipass_kernel2ILj256ELj16E21rocsparse_complex_numIfEEEv20rocsparse_direction_iiiNS_24const_host_device_scalarIT1_EEPKiS8_PKS5_S6_S8_S8_SA_S8_PiPS5_21rocsparse_index_base_SD_SD_b,@function
_ZN9rocsparseL39bsrgeam_block_per_row_multipass_kernel2ILj256ELj16E21rocsparse_complex_numIfEEEv20rocsparse_direction_iiiNS_24const_host_device_scalarIT1_EEPKiS8_PKS5_S6_S8_S8_SA_S8_PiPS5_21rocsparse_index_base_SD_SD_b: ; @_ZN9rocsparseL39bsrgeam_block_per_row_multipass_kernel2ILj256ELj16E21rocsparse_complex_numIfEEEv20rocsparse_direction_iiiNS_24const_host_device_scalarIT1_EEPKiS8_PKS5_S6_S8_S8_SA_S8_PiPS5_21rocsparse_index_base_SD_SD_b
; %bb.0:
	s_load_dwordx4 s[8:11], s[0:1], 0x68
	s_load_dwordx2 s[14:15], s[0:1], 0x10
	s_load_dwordx2 s[6:7], s[0:1], 0x30
	s_waitcnt lgkmcnt(0)
	s_bitcmp1_b32 s11, 0
	s_cselect_b64 s[4:5], -1, 0
	s_xor_b64 s[16:17], s[4:5], -1
	s_and_b64 vcc, exec, s[4:5]
	s_mov_b32 s12, s14
	s_cbranch_vccnz .LBB22_2
; %bb.1:
	s_load_dword s12, s[14:15], 0x0
.LBB22_2:
	v_cndmask_b32_e64 v1, 0, 1, s[16:17]
	v_cmp_ne_u32_e64 s[4:5], 1, v1
	s_andn2_b64 vcc, exec, s[16:17]
	s_mov_b32 s13, s15
	s_cbranch_vccnz .LBB22_4
; %bb.3:
	s_load_dword s13, s[14:15], 0x4
.LBB22_4:
	s_load_dwordx2 s[22:23], s[0:1], 0x50
	s_load_dwordx2 s[18:19], s[0:1], 0x18
	;; [unrolled: 1-line block ×3, first 2 shown]
	s_and_b64 vcc, exec, s[4:5]
	s_mov_b32 s14, s6
	s_cbranch_vccnz .LBB22_6
; %bb.5:
	s_load_dword s14, s[6:7], 0x0
.LBB22_6:
	s_load_dwordx2 s[16:17], s[0:1], 0x20
	s_and_b64 vcc, exec, s[4:5]
	s_mov_b32 s15, s7
	s_cbranch_vccnz .LBB22_8
; %bb.7:
	s_load_dword s15, s[6:7], 0x4
.LBB22_8:
	s_ashr_i32 s3, s2, 31
	s_lshl_b64 s[4:5], s[2:3], 2
	s_waitcnt lgkmcnt(0)
	s_add_u32 s6, s18, s4
	s_addc_u32 s7, s19, s5
	s_load_dwordx2 s[28:29], s[6:7], 0x0
	s_load_dwordx2 s[2:3], s[0:1], 0x40
	;; [unrolled: 1-line block ×3, first 2 shown]
	s_waitcnt lgkmcnt(0)
	s_sub_i32 s20, s28, s8
	s_add_u32 s6, s24, s4
	s_addc_u32 s7, s25, s5
	s_load_dwordx2 s[30:31], s[6:7], 0x0
	s_add_u32 s26, s22, s4
	s_addc_u32 s27, s23, s5
	s_cmp_ge_i32 s28, s29
	s_mov_b32 s21, s18
	s_cbranch_scc1 .LBB22_10
; %bb.9:
	s_ashr_i32 s21, s20, 31
	s_lshl_b64 s[4:5], s[20:21], 2
	s_add_u32 s4, s16, s4
	s_addc_u32 s5, s17, s5
	s_load_dword s4, s[4:5], 0x0
	s_waitcnt lgkmcnt(0)
	s_sub_i32 s21, s4, s8
.LBB22_10:
	s_load_dwordx4 s[4:7], s[0:1], 0x58
	s_load_dwordx2 s[22:23], s[0:1], 0x28
	s_load_dwordx2 s[24:25], s[0:1], 0x48
	s_load_dword s28, s[26:27], 0x0
	s_waitcnt lgkmcnt(0)
	s_sub_i32 s26, s30, s9
	s_cmp_ge_i32 s30, s31
	s_mov_b32 s27, s18
	s_cbranch_scc1 .LBB22_12
; %bb.11:
	s_ashr_i32 s27, s26, 31
	s_lshl_b64 s[34:35], s[26:27], 2
	s_add_u32 s34, s2, s34
	s_addc_u32 s35, s3, s35
	s_load_dword s11, s[34:35], 0x0
	s_waitcnt lgkmcnt(0)
	s_sub_i32 s27, s11, s9
.LBB22_12:
	s_load_dword s30, s[0:1], 0x0
	v_and_b32_e32 v2, 15, v0
	v_lshrrev_b32_e32 v4, 4, v0
	v_cmp_gt_u32_e32 vcc, s19, v2
	v_cmp_gt_i32_e64 s[0:1], s19, v4
	s_sub_i32 s11, s29, s8
	s_sub_i32 s33, s31, s9
	;; [unrolled: 1-line block ×3, first 2 shown]
	s_min_i32 s29, s27, s21
	s_and_b64 s[0:1], vcc, s[0:1]
	v_lshlrev_b32_e32 v3, 3, v0
	v_lshlrev_b32_e32 v0, 3, v4
	s_waitcnt lgkmcnt(0)
	s_cmp_lg_u32 s30, 0
	v_lshlrev_b32_e32 v6, 7, v2
	v_mov_b32_e32 v1, 0
	s_cselect_b64 s[30:31], -1, 0
	s_xor_b32 s34, s13, 0x80000000
	s_xor_b32 s36, s15, 0x80000000
	s_mov_b32 s35, s12
	s_mov_b32 s37, s14
	s_mul_i32 s46, s19, s19
	v_mov_b32_e32 v12, v1
	v_mov_b32_e32 v13, v1
	;; [unrolled: 1-line block ×3, first 2 shown]
	v_add_u32_e32 v10, v0, v6
	s_branch .LBB22_15
.LBB22_13:                              ;   in Loop: Header=BB22_15 Depth=1
	s_or_b64 exec, exec, s[38:39]
.LBB22_14:                              ;   in Loop: Header=BB22_15 Depth=1
	s_barrier
	ds_read_b32 v0, v1 offset:2048
	s_mov_b32 s29, s27
	s_waitcnt lgkmcnt(0)
	s_barrier
	v_readfirstlane_b32 s21, v0
	s_add_i32 s28, s21, s28
	s_cmp_lt_i32 s27, s18
	s_cbranch_scc0 .LBB22_53
.LBB22_15:                              ; =>This Loop Header: Depth=1
                                        ;     Child Loop BB22_17 Depth 2
                                        ;     Child Loop BB22_33 Depth 2
	s_cmp_ge_i32 s20, s11
	ds_write_b32 v1, v1 offset:2048
	ds_write_b64 v3, v[12:13]
	s_waitcnt lgkmcnt(0)
	s_barrier
	s_cbranch_scc1 .LBB22_30
; %bb.16:                               ;   in Loop: Header=BB22_15 Depth=1
	s_mul_i32 s21, s19, s20
	v_add_u32_e32 v0, s21, v4
	v_mad_u64_u32 v[6:7], s[38:39], s19, v0, v[2:3]
	v_add_u32_e32 v0, s21, v2
	v_mad_u64_u32 v[8:9], s[38:39], s19, v0, v[4:5]
	s_ashr_i32 s21, s20, 31
	s_lshl_b64 s[38:39], s[20:21], 2
	s_add_u32 s38, s16, s38
	s_addc_u32 s39, s17, s39
	s_mov_b32 s27, 0
	s_mov_b32 s47, s18
.LBB22_17:                              ;   Parent Loop BB22_15 Depth=1
                                        ; =>  This Inner Loop Header: Depth=2
	s_load_dword s21, s[38:39], 0x0
	s_mov_b64 s[42:43], -1
	s_waitcnt lgkmcnt(0)
	s_sub_i32 s44, s21, s8
	s_cmp_eq_u32 s44, s29
	s_cselect_b64 s[40:41], -1, 0
	s_cmp_lg_u32 s44, s29
                                        ; implicit-def: $sgpr21
	s_cbranch_scc1 .LBB22_21
; %bb.18:                               ;   in Loop: Header=BB22_17 Depth=2
	s_andn2_b64 vcc, exec, s[42:43]
	s_cbranch_vccz .LBB22_22
.LBB22_19:                              ;   in Loop: Header=BB22_17 Depth=2
	s_andn2_b64 vcc, exec, s[40:41]
	s_mov_b64 s[40:41], -1
	s_cbranch_vccnz .LBB22_27
.LBB22_20:                              ;   in Loop: Header=BB22_17 Depth=2
	s_add_i32 s20, s20, 1
	s_add_i32 s27, s27, s46
	s_add_u32 s38, s38, 4
	s_addc_u32 s39, s39, 0
	s_cmp_ge_i32 s20, s11
	s_cselect_b64 s[40:41], -1, 0
	s_andn2_b64 vcc, exec, s[40:41]
	s_cbranch_vccnz .LBB22_28
	s_branch .LBB22_31
.LBB22_21:                              ;   in Loop: Header=BB22_17 Depth=2
	s_min_i32 s21, s44, s47
	s_cbranch_execnz .LBB22_19
.LBB22_22:                              ;   in Loop: Header=BB22_17 Depth=2
	ds_write_b32 v1, v5 offset:2048
	s_and_saveexec_b64 s[42:43], s[0:1]
	s_cbranch_execz .LBB22_26
; %bb.23:                               ;   in Loop: Header=BB22_17 Depth=2
	s_and_b64 vcc, exec, s[30:31]
	s_cbranch_vccz .LBB22_29
; %bb.24:                               ;   in Loop: Header=BB22_17 Depth=2
	v_add_u32_e32 v0, s27, v8
	v_lshl_add_u64 v[14:15], v[0:1], 3, s[22:23]
	global_load_dwordx2 v[14:15], v[14:15], off
	s_waitcnt vmcnt(0)
	v_pk_mul_f32 v[16:17], v[14:15], s[34:35] op_sel:[1,0]
	s_nop 0
	v_pk_fma_f32 v[14:15], s[12:13], v[14:15], v[16:17] op_sel_hi:[1,0,1]
	ds_write_b64 v10, v[14:15]
	s_cbranch_execnz .LBB22_26
.LBB22_25:                              ;   in Loop: Header=BB22_17 Depth=2
	v_add_u32_e32 v0, s27, v6
	v_lshl_add_u64 v[14:15], v[0:1], 3, s[22:23]
	global_load_dwordx2 v[14:15], v[14:15], off
	s_waitcnt vmcnt(0)
	v_pk_mul_f32 v[16:17], v[14:15], s[34:35] op_sel:[1,0]
	s_nop 0
	v_pk_fma_f32 v[14:15], s[12:13], v[14:15], v[16:17] op_sel_hi:[1,0,1]
	ds_write_b64 v3, v[14:15]
.LBB22_26:                              ;   in Loop: Header=BB22_17 Depth=2
	s_or_b64 exec, exec, s[42:43]
	s_mov_b32 s21, s47
	s_andn2_b64 vcc, exec, s[40:41]
	s_mov_b64 s[40:41], -1
	s_cbranch_vccz .LBB22_20
.LBB22_27:                              ;   in Loop: Header=BB22_17 Depth=2
                                        ; implicit-def: $sgpr27
                                        ; implicit-def: $sgpr38_sgpr39
	s_andn2_b64 vcc, exec, s[40:41]
	s_cbranch_vccz .LBB22_31
.LBB22_28:                              ;   in Loop: Header=BB22_17 Depth=2
	s_mov_b32 s47, s21
	s_branch .LBB22_17
.LBB22_29:                              ;   in Loop: Header=BB22_17 Depth=2
	s_branch .LBB22_25
.LBB22_30:                              ;   in Loop: Header=BB22_15 Depth=1
	s_mov_b32 s21, s18
.LBB22_31:                              ;   in Loop: Header=BB22_15 Depth=1
	s_cmp_ge_i32 s26, s33
	s_waitcnt lgkmcnt(0)
	s_barrier
	s_cbranch_scc1 .LBB22_46
; %bb.32:                               ;   in Loop: Header=BB22_15 Depth=1
	s_mul_i32 s27, s19, s26
	v_add_u32_e32 v0, s27, v4
	v_mad_u64_u32 v[6:7], s[38:39], s19, v0, v[2:3]
	v_add_u32_e32 v0, s27, v2
	v_mad_u64_u32 v[8:9], s[38:39], s19, v0, v[4:5]
	s_ashr_i32 s27, s26, 31
	s_lshl_b64 s[38:39], s[26:27], 2
	s_add_u32 s38, s2, s38
	s_addc_u32 s39, s3, s39
	s_mov_b32 s47, 0
.LBB22_33:                              ;   Parent Loop BB22_15 Depth=1
                                        ; =>  This Inner Loop Header: Depth=2
	s_load_dword s27, s[38:39], 0x0
	s_mov_b64 s[42:43], -1
	s_waitcnt lgkmcnt(0)
	s_sub_i32 s44, s27, s9
	s_cmp_eq_u32 s44, s29
	s_cselect_b64 s[40:41], -1, 0
	s_cmp_lg_u32 s44, s29
                                        ; implicit-def: $sgpr27
	s_cbranch_scc1 .LBB22_37
; %bb.34:                               ;   in Loop: Header=BB22_33 Depth=2
	s_andn2_b64 vcc, exec, s[42:43]
	s_cbranch_vccz .LBB22_38
.LBB22_35:                              ;   in Loop: Header=BB22_33 Depth=2
	s_andn2_b64 vcc, exec, s[40:41]
	s_mov_b64 s[40:41], -1
	s_cbranch_vccnz .LBB22_43
.LBB22_36:                              ;   in Loop: Header=BB22_33 Depth=2
	s_add_i32 s26, s26, 1
	s_add_i32 s47, s47, s46
	s_add_u32 s38, s38, 4
	s_addc_u32 s39, s39, 0
	s_cmp_ge_i32 s26, s33
	s_cselect_b64 s[40:41], -1, 0
	s_andn2_b64 vcc, exec, s[40:41]
	s_cbranch_vccnz .LBB22_44
	s_branch .LBB22_47
.LBB22_37:                              ;   in Loop: Header=BB22_33 Depth=2
	s_min_i32 s27, s44, s21
	s_cbranch_execnz .LBB22_35
.LBB22_38:                              ;   in Loop: Header=BB22_33 Depth=2
	ds_write_b32 v1, v5 offset:2048
	s_and_saveexec_b64 s[42:43], s[0:1]
	s_cbranch_execz .LBB22_42
; %bb.39:                               ;   in Loop: Header=BB22_33 Depth=2
	s_and_b64 vcc, exec, s[30:31]
	s_cbranch_vccz .LBB22_45
; %bb.40:                               ;   in Loop: Header=BB22_33 Depth=2
	v_add_u32_e32 v0, s47, v8
	v_lshl_add_u64 v[14:15], v[0:1], 3, s[24:25]
	global_load_dwordx2 v[14:15], v[14:15], off
	ds_read_b64 v[16:17], v10
	s_waitcnt vmcnt(0) lgkmcnt(0)
	v_pk_fma_f32 v[16:17], s[14:15], v[14:15], v[16:17] op_sel_hi:[1,0,1]
	s_nop 0
	v_pk_fma_f32 v[14:15], s[36:37], v[14:15], v[16:17] op_sel:[0,1,0]
	ds_write_b64 v10, v[14:15]
	s_cbranch_execnz .LBB22_42
.LBB22_41:                              ;   in Loop: Header=BB22_33 Depth=2
	v_add_u32_e32 v0, s47, v6
	v_lshl_add_u64 v[14:15], v[0:1], 3, s[24:25]
	global_load_dwordx2 v[14:15], v[14:15], off
	ds_read_b64 v[16:17], v3
	s_waitcnt vmcnt(0) lgkmcnt(0)
	v_pk_fma_f32 v[16:17], s[14:15], v[14:15], v[16:17] op_sel_hi:[1,0,1]
	s_nop 0
	v_pk_fma_f32 v[14:15], s[36:37], v[14:15], v[16:17] op_sel:[0,1,0]
	ds_write_b64 v3, v[14:15]
.LBB22_42:                              ;   in Loop: Header=BB22_33 Depth=2
	s_or_b64 exec, exec, s[42:43]
	s_mov_b32 s27, s21
	s_andn2_b64 vcc, exec, s[40:41]
	s_mov_b64 s[40:41], -1
	s_cbranch_vccz .LBB22_36
.LBB22_43:                              ;   in Loop: Header=BB22_33 Depth=2
                                        ; implicit-def: $sgpr47
                                        ; implicit-def: $sgpr38_sgpr39
	s_andn2_b64 vcc, exec, s[40:41]
	s_cbranch_vccz .LBB22_47
.LBB22_44:                              ;   in Loop: Header=BB22_33 Depth=2
	s_mov_b32 s21, s27
	s_branch .LBB22_33
.LBB22_45:                              ;   in Loop: Header=BB22_33 Depth=2
	s_branch .LBB22_41
.LBB22_46:                              ;   in Loop: Header=BB22_15 Depth=1
	s_mov_b32 s27, s21
.LBB22_47:                              ;   in Loop: Header=BB22_15 Depth=1
	s_waitcnt lgkmcnt(0)
	s_barrier
	ds_read_b32 v0, v1 offset:2048
	s_waitcnt lgkmcnt(0)
	v_cmp_eq_u32_e32 vcc, 0, v0
	s_cbranch_vccnz .LBB22_14
; %bb.48:                               ;   in Loop: Header=BB22_15 Depth=1
	s_add_i32 s21, s29, s10
	s_ashr_i32 s29, s28, 31
	s_lshl_b64 s[38:39], s[28:29], 2
	s_add_u32 s38, s4, s38
	s_addc_u32 s39, s5, s39
	v_mov_b32_e32 v0, s21
	global_store_dword v1, v0, s[38:39]
	s_and_saveexec_b64 s[38:39], s[0:1]
	s_cbranch_execz .LBB22_13
; %bb.49:                               ;   in Loop: Header=BB22_15 Depth=1
	s_mul_i32 s21, s28, s19
	s_and_b64 vcc, exec, s[30:31]
	s_cbranch_vccz .LBB22_51
; %bb.50:                               ;   in Loop: Header=BB22_15 Depth=1
	ds_read_b64 v[6:7], v10
	v_add_u32_e32 v0, s21, v2
	v_mad_u64_u32 v[8:9], s[40:41], v0, s19, v[4:5]
	v_mov_b32_e32 v9, v1
	v_lshl_add_u64 v[8:9], v[8:9], 3, s[6:7]
	s_waitcnt lgkmcnt(0)
	global_store_dwordx2 v[8:9], v[6:7], off
	s_cbranch_execnz .LBB22_13
	s_branch .LBB22_52
.LBB22_51:                              ;   in Loop: Header=BB22_15 Depth=1
.LBB22_52:                              ;   in Loop: Header=BB22_15 Depth=1
	ds_read_b64 v[6:7], v3
	v_add_u32_e32 v0, s21, v4
	v_mad_u64_u32 v[8:9], s[40:41], v0, s19, v[2:3]
	v_mov_b32_e32 v9, v1
	v_lshl_add_u64 v[8:9], v[8:9], 3, s[6:7]
	s_waitcnt lgkmcnt(0)
	global_store_dwordx2 v[8:9], v[6:7], off
	s_branch .LBB22_13
.LBB22_53:
	s_endpgm
	.section	.rodata,"a",@progbits
	.p2align	6, 0x0
	.amdhsa_kernel _ZN9rocsparseL39bsrgeam_block_per_row_multipass_kernel2ILj256ELj16E21rocsparse_complex_numIfEEEv20rocsparse_direction_iiiNS_24const_host_device_scalarIT1_EEPKiS8_PKS5_S6_S8_S8_SA_S8_PiPS5_21rocsparse_index_base_SD_SD_b
		.amdhsa_group_segment_fixed_size 2052
		.amdhsa_private_segment_fixed_size 0
		.amdhsa_kernarg_size 120
		.amdhsa_user_sgpr_count 2
		.amdhsa_user_sgpr_dispatch_ptr 0
		.amdhsa_user_sgpr_queue_ptr 0
		.amdhsa_user_sgpr_kernarg_segment_ptr 1
		.amdhsa_user_sgpr_dispatch_id 0
		.amdhsa_user_sgpr_kernarg_preload_length 0
		.amdhsa_user_sgpr_kernarg_preload_offset 0
		.amdhsa_user_sgpr_private_segment_size 0
		.amdhsa_uses_dynamic_stack 0
		.amdhsa_enable_private_segment 0
		.amdhsa_system_sgpr_workgroup_id_x 1
		.amdhsa_system_sgpr_workgroup_id_y 0
		.amdhsa_system_sgpr_workgroup_id_z 0
		.amdhsa_system_sgpr_workgroup_info 0
		.amdhsa_system_vgpr_workitem_id 0
		.amdhsa_next_free_vgpr 18
		.amdhsa_next_free_sgpr 48
		.amdhsa_accum_offset 20
		.amdhsa_reserve_vcc 1
		.amdhsa_float_round_mode_32 0
		.amdhsa_float_round_mode_16_64 0
		.amdhsa_float_denorm_mode_32 3
		.amdhsa_float_denorm_mode_16_64 3
		.amdhsa_dx10_clamp 1
		.amdhsa_ieee_mode 1
		.amdhsa_fp16_overflow 0
		.amdhsa_tg_split 0
		.amdhsa_exception_fp_ieee_invalid_op 0
		.amdhsa_exception_fp_denorm_src 0
		.amdhsa_exception_fp_ieee_div_zero 0
		.amdhsa_exception_fp_ieee_overflow 0
		.amdhsa_exception_fp_ieee_underflow 0
		.amdhsa_exception_fp_ieee_inexact 0
		.amdhsa_exception_int_div_zero 0
	.end_amdhsa_kernel
	.section	.text._ZN9rocsparseL39bsrgeam_block_per_row_multipass_kernel2ILj256ELj16E21rocsparse_complex_numIfEEEv20rocsparse_direction_iiiNS_24const_host_device_scalarIT1_EEPKiS8_PKS5_S6_S8_S8_SA_S8_PiPS5_21rocsparse_index_base_SD_SD_b,"axG",@progbits,_ZN9rocsparseL39bsrgeam_block_per_row_multipass_kernel2ILj256ELj16E21rocsparse_complex_numIfEEEv20rocsparse_direction_iiiNS_24const_host_device_scalarIT1_EEPKiS8_PKS5_S6_S8_S8_SA_S8_PiPS5_21rocsparse_index_base_SD_SD_b,comdat
.Lfunc_end22:
	.size	_ZN9rocsparseL39bsrgeam_block_per_row_multipass_kernel2ILj256ELj16E21rocsparse_complex_numIfEEEv20rocsparse_direction_iiiNS_24const_host_device_scalarIT1_EEPKiS8_PKS5_S6_S8_S8_SA_S8_PiPS5_21rocsparse_index_base_SD_SD_b, .Lfunc_end22-_ZN9rocsparseL39bsrgeam_block_per_row_multipass_kernel2ILj256ELj16E21rocsparse_complex_numIfEEEv20rocsparse_direction_iiiNS_24const_host_device_scalarIT1_EEPKiS8_PKS5_S6_S8_S8_SA_S8_PiPS5_21rocsparse_index_base_SD_SD_b
                                        ; -- End function
	.set _ZN9rocsparseL39bsrgeam_block_per_row_multipass_kernel2ILj256ELj16E21rocsparse_complex_numIfEEEv20rocsparse_direction_iiiNS_24const_host_device_scalarIT1_EEPKiS8_PKS5_S6_S8_S8_SA_S8_PiPS5_21rocsparse_index_base_SD_SD_b.num_vgpr, 18
	.set _ZN9rocsparseL39bsrgeam_block_per_row_multipass_kernel2ILj256ELj16E21rocsparse_complex_numIfEEEv20rocsparse_direction_iiiNS_24const_host_device_scalarIT1_EEPKiS8_PKS5_S6_S8_S8_SA_S8_PiPS5_21rocsparse_index_base_SD_SD_b.num_agpr, 0
	.set _ZN9rocsparseL39bsrgeam_block_per_row_multipass_kernel2ILj256ELj16E21rocsparse_complex_numIfEEEv20rocsparse_direction_iiiNS_24const_host_device_scalarIT1_EEPKiS8_PKS5_S6_S8_S8_SA_S8_PiPS5_21rocsparse_index_base_SD_SD_b.numbered_sgpr, 48
	.set _ZN9rocsparseL39bsrgeam_block_per_row_multipass_kernel2ILj256ELj16E21rocsparse_complex_numIfEEEv20rocsparse_direction_iiiNS_24const_host_device_scalarIT1_EEPKiS8_PKS5_S6_S8_S8_SA_S8_PiPS5_21rocsparse_index_base_SD_SD_b.num_named_barrier, 0
	.set _ZN9rocsparseL39bsrgeam_block_per_row_multipass_kernel2ILj256ELj16E21rocsparse_complex_numIfEEEv20rocsparse_direction_iiiNS_24const_host_device_scalarIT1_EEPKiS8_PKS5_S6_S8_S8_SA_S8_PiPS5_21rocsparse_index_base_SD_SD_b.private_seg_size, 0
	.set _ZN9rocsparseL39bsrgeam_block_per_row_multipass_kernel2ILj256ELj16E21rocsparse_complex_numIfEEEv20rocsparse_direction_iiiNS_24const_host_device_scalarIT1_EEPKiS8_PKS5_S6_S8_S8_SA_S8_PiPS5_21rocsparse_index_base_SD_SD_b.uses_vcc, 1
	.set _ZN9rocsparseL39bsrgeam_block_per_row_multipass_kernel2ILj256ELj16E21rocsparse_complex_numIfEEEv20rocsparse_direction_iiiNS_24const_host_device_scalarIT1_EEPKiS8_PKS5_S6_S8_S8_SA_S8_PiPS5_21rocsparse_index_base_SD_SD_b.uses_flat_scratch, 0
	.set _ZN9rocsparseL39bsrgeam_block_per_row_multipass_kernel2ILj256ELj16E21rocsparse_complex_numIfEEEv20rocsparse_direction_iiiNS_24const_host_device_scalarIT1_EEPKiS8_PKS5_S6_S8_S8_SA_S8_PiPS5_21rocsparse_index_base_SD_SD_b.has_dyn_sized_stack, 0
	.set _ZN9rocsparseL39bsrgeam_block_per_row_multipass_kernel2ILj256ELj16E21rocsparse_complex_numIfEEEv20rocsparse_direction_iiiNS_24const_host_device_scalarIT1_EEPKiS8_PKS5_S6_S8_S8_SA_S8_PiPS5_21rocsparse_index_base_SD_SD_b.has_recursion, 0
	.set _ZN9rocsparseL39bsrgeam_block_per_row_multipass_kernel2ILj256ELj16E21rocsparse_complex_numIfEEEv20rocsparse_direction_iiiNS_24const_host_device_scalarIT1_EEPKiS8_PKS5_S6_S8_S8_SA_S8_PiPS5_21rocsparse_index_base_SD_SD_b.has_indirect_call, 0
	.section	.AMDGPU.csdata,"",@progbits
; Kernel info:
; codeLenInByte = 1440
; TotalNumSgprs: 54
; NumVgprs: 18
; NumAgprs: 0
; TotalNumVgprs: 18
; ScratchSize: 0
; MemoryBound: 0
; FloatMode: 240
; IeeeMode: 1
; LDSByteSize: 2052 bytes/workgroup (compile time only)
; SGPRBlocks: 6
; VGPRBlocks: 2
; NumSGPRsForWavesPerEU: 54
; NumVGPRsForWavesPerEU: 18
; AccumOffset: 20
; Occupancy: 8
; WaveLimiterHint : 1
; COMPUTE_PGM_RSRC2:SCRATCH_EN: 0
; COMPUTE_PGM_RSRC2:USER_SGPR: 2
; COMPUTE_PGM_RSRC2:TRAP_HANDLER: 0
; COMPUTE_PGM_RSRC2:TGID_X_EN: 1
; COMPUTE_PGM_RSRC2:TGID_Y_EN: 0
; COMPUTE_PGM_RSRC2:TGID_Z_EN: 0
; COMPUTE_PGM_RSRC2:TIDIG_COMP_CNT: 0
; COMPUTE_PGM_RSRC3_GFX90A:ACCUM_OFFSET: 4
; COMPUTE_PGM_RSRC3_GFX90A:TG_SPLIT: 0
	.section	.text._ZN9rocsparseL39bsrgeam_block_per_row_multipass_kernel2ILj256ELj32E21rocsparse_complex_numIfEEEv20rocsparse_direction_iiiNS_24const_host_device_scalarIT1_EEPKiS8_PKS5_S6_S8_S8_SA_S8_PiPS5_21rocsparse_index_base_SD_SD_b,"axG",@progbits,_ZN9rocsparseL39bsrgeam_block_per_row_multipass_kernel2ILj256ELj32E21rocsparse_complex_numIfEEEv20rocsparse_direction_iiiNS_24const_host_device_scalarIT1_EEPKiS8_PKS5_S6_S8_S8_SA_S8_PiPS5_21rocsparse_index_base_SD_SD_b,comdat
	.globl	_ZN9rocsparseL39bsrgeam_block_per_row_multipass_kernel2ILj256ELj32E21rocsparse_complex_numIfEEEv20rocsparse_direction_iiiNS_24const_host_device_scalarIT1_EEPKiS8_PKS5_S6_S8_S8_SA_S8_PiPS5_21rocsparse_index_base_SD_SD_b ; -- Begin function _ZN9rocsparseL39bsrgeam_block_per_row_multipass_kernel2ILj256ELj32E21rocsparse_complex_numIfEEEv20rocsparse_direction_iiiNS_24const_host_device_scalarIT1_EEPKiS8_PKS5_S6_S8_S8_SA_S8_PiPS5_21rocsparse_index_base_SD_SD_b
	.p2align	8
	.type	_ZN9rocsparseL39bsrgeam_block_per_row_multipass_kernel2ILj256ELj32E21rocsparse_complex_numIfEEEv20rocsparse_direction_iiiNS_24const_host_device_scalarIT1_EEPKiS8_PKS5_S6_S8_S8_SA_S8_PiPS5_21rocsparse_index_base_SD_SD_b,@function
_ZN9rocsparseL39bsrgeam_block_per_row_multipass_kernel2ILj256ELj32E21rocsparse_complex_numIfEEEv20rocsparse_direction_iiiNS_24const_host_device_scalarIT1_EEPKiS8_PKS5_S6_S8_S8_SA_S8_PiPS5_21rocsparse_index_base_SD_SD_b: ; @_ZN9rocsparseL39bsrgeam_block_per_row_multipass_kernel2ILj256ELj32E21rocsparse_complex_numIfEEEv20rocsparse_direction_iiiNS_24const_host_device_scalarIT1_EEPKiS8_PKS5_S6_S8_S8_SA_S8_PiPS5_21rocsparse_index_base_SD_SD_b
; %bb.0:
	s_load_dwordx4 s[8:11], s[0:1], 0x68
	s_load_dwordx2 s[14:15], s[0:1], 0x10
	s_load_dwordx2 s[6:7], s[0:1], 0x30
	s_waitcnt lgkmcnt(0)
	s_bitcmp1_b32 s11, 0
	s_cselect_b64 s[4:5], -1, 0
	s_xor_b64 s[16:17], s[4:5], -1
	s_and_b64 vcc, exec, s[4:5]
	s_mov_b32 s12, s14
	s_cbranch_vccnz .LBB23_2
; %bb.1:
	s_load_dword s12, s[14:15], 0x0
.LBB23_2:
	v_cndmask_b32_e64 v1, 0, 1, s[16:17]
	v_cmp_ne_u32_e64 s[4:5], 1, v1
	s_andn2_b64 vcc, exec, s[16:17]
	s_mov_b32 s13, s15
	s_cbranch_vccnz .LBB23_4
; %bb.3:
	s_load_dword s13, s[14:15], 0x4
.LBB23_4:
	s_load_dwordx2 s[22:23], s[0:1], 0x50
	s_load_dwordx2 s[18:19], s[0:1], 0x18
	;; [unrolled: 1-line block ×3, first 2 shown]
	s_and_b64 vcc, exec, s[4:5]
	s_mov_b32 s14, s6
	s_cbranch_vccnz .LBB23_6
; %bb.5:
	s_load_dword s14, s[6:7], 0x0
.LBB23_6:
	s_load_dwordx2 s[16:17], s[0:1], 0x20
	s_and_b64 vcc, exec, s[4:5]
	s_mov_b32 s15, s7
	s_cbranch_vccnz .LBB23_8
; %bb.7:
	s_load_dword s15, s[6:7], 0x4
.LBB23_8:
	s_ashr_i32 s3, s2, 31
	s_lshl_b64 s[4:5], s[2:3], 2
	s_waitcnt lgkmcnt(0)
	s_add_u32 s6, s18, s4
	s_addc_u32 s7, s19, s5
	s_load_dwordx2 s[28:29], s[6:7], 0x0
	s_load_dwordx2 s[2:3], s[0:1], 0x40
	;; [unrolled: 1-line block ×3, first 2 shown]
	s_waitcnt lgkmcnt(0)
	s_sub_i32 s20, s28, s8
	s_add_u32 s6, s24, s4
	s_addc_u32 s7, s25, s5
	s_load_dwordx2 s[30:31], s[6:7], 0x0
	s_add_u32 s26, s22, s4
	s_addc_u32 s27, s23, s5
	s_cmp_ge_i32 s28, s29
	s_mov_b32 s21, s18
	s_cbranch_scc1 .LBB23_10
; %bb.9:
	s_ashr_i32 s21, s20, 31
	s_lshl_b64 s[4:5], s[20:21], 2
	s_add_u32 s4, s16, s4
	s_addc_u32 s5, s17, s5
	s_load_dword s4, s[4:5], 0x0
	s_waitcnt lgkmcnt(0)
	s_sub_i32 s21, s4, s8
.LBB23_10:
	s_load_dwordx4 s[4:7], s[0:1], 0x58
	s_load_dwordx2 s[22:23], s[0:1], 0x28
	s_load_dwordx2 s[24:25], s[0:1], 0x48
	s_load_dword s28, s[26:27], 0x0
	s_waitcnt lgkmcnt(0)
	s_sub_i32 s26, s30, s9
	s_cmp_ge_i32 s30, s31
	s_mov_b32 s27, s18
	s_cbranch_scc1 .LBB23_12
; %bb.11:
	s_ashr_i32 s27, s26, 31
	s_lshl_b64 s[34:35], s[26:27], 2
	s_add_u32 s34, s2, s34
	s_addc_u32 s35, s3, s35
	s_load_dword s11, s[34:35], 0x0
	s_waitcnt lgkmcnt(0)
	s_sub_i32 s27, s11, s9
.LBB23_12:
	s_load_dword s0, s[0:1], 0x0
	v_and_b32_e32 v2, 7, v0
	v_lshrrev_b32_e32 v0, 3, v0
	s_sub_i32 s11, s29, s8
	s_sub_i32 s33, s31, s9
	;; [unrolled: 1-line block ×3, first 2 shown]
	s_min_i32 s29, s27, s21
	v_lshlrev_b32_e32 v3, 8, v0
	s_movk_i32 s1, 0xff08
	v_lshl_or_b32 v1, v2, 3, v3
	v_cmp_gt_i32_e32 vcc, s19, v0
	v_mad_i32_i24 v4, v0, s1, v3
	s_waitcnt lgkmcnt(0)
	s_cmp_lg_u32 s0, 0
	v_cmp_gt_u32_e64 s[0:1], s19, v2
	v_or_b32_e32 v3, 8, v2
	s_cselect_b64 s[30:31], -1, 0
	s_and_b64 s[38:39], vcc, s[0:1]
	v_cmp_gt_u32_e64 s[0:1], s19, v3
	v_or_b32_e32 v18, 16, v2
	s_mov_b32 s46, 0
	v_lshlrev_b32_e32 v8, 8, v2
	s_and_b64 s[40:41], vcc, s[0:1]
	v_cmp_gt_u32_e64 s[0:1], s19, v18
	v_or_b32_e32 v19, 24, v2
	v_lshlrev_b32_e32 v9, 8, v3
	s_and_b64 s[42:43], vcc, s[0:1]
	v_lshlrev_b32_e32 v10, 8, v18
	v_cmp_gt_u32_e64 s[0:1], s19, v19
	v_lshlrev_b32_e32 v11, 8, v19
	s_mov_b32 s47, s46
	v_add_u32_e32 v21, v4, v8
	v_cndmask_b32_e64 v8, 0, 1, s[30:31]
	s_xor_b32 s34, s13, 0x80000000
	s_xor_b32 s36, s15, 0x80000000
	s_and_b64 s[44:45], vcc, s[0:1]
	s_mov_b32 s35, s12
	s_mov_b32 s37, s14
	s_mul_i32 s54, s19, s19
	v_mov_b32_e32 v5, 0
	v_mov_b64_e32 v[6:7], s[46:47]
	v_mov_b32_e32 v20, 1
	v_cmp_ne_u32_e64 s[0:1], 1, v8
	v_add_u32_e32 v22, v4, v9
	v_add_u32_e32 v23, v4, v10
	;; [unrolled: 1-line block ×3, first 2 shown]
	s_branch .LBB23_15
.LBB23_13:                              ;   in Loop: Header=BB23_15 Depth=1
	s_or_b64 exec, exec, s[46:47]
.LBB23_14:                              ;   in Loop: Header=BB23_15 Depth=1
	s_barrier
	ds_read_b32 v4, v5 offset:8192
	s_mov_b32 s29, s27
	s_waitcnt lgkmcnt(0)
	s_barrier
	v_readfirstlane_b32 s21, v4
	s_add_i32 s28, s21, s28
	s_cmp_lt_i32 s27, s18
	s_cbranch_scc0 .LBB23_98
.LBB23_15:                              ; =>This Loop Header: Depth=1
                                        ;     Child Loop BB23_17 Depth 2
                                        ;     Child Loop BB23_48 Depth 2
	s_cmp_ge_i32 s20, s11
	ds_write_b32 v5, v5 offset:8192
	ds_write2_b64 v1, v[6:7], v[6:7] offset1:8
	ds_write2_b64 v1, v[6:7], v[6:7] offset0:16 offset1:24
	s_waitcnt lgkmcnt(0)
	s_barrier
	s_cbranch_scc1 .LBB23_45
; %bb.16:                               ;   in Loop: Header=BB23_15 Depth=1
	s_mul_i32 s21, s19, s20
	v_add_u32_e32 v4, s21, v2
	v_mad_u64_u32 v[8:9], s[46:47], s19, v4, v[0:1]
	v_add_u32_e32 v4, s21, v3
	v_mad_u64_u32 v[10:11], s[46:47], s19, v4, v[0:1]
	;; [unrolled: 2-line block ×5, first 2 shown]
	s_ashr_i32 s21, s20, 31
	s_lshl_b64 s[46:47], s[20:21], 2
	s_add_u32 s46, s16, s46
	s_addc_u32 s47, s17, s47
	s_mov_b32 s27, 0
	s_mov_b32 s55, s18
.LBB23_17:                              ;   Parent Loop BB23_15 Depth=1
                                        ; =>  This Inner Loop Header: Depth=2
	s_load_dword s21, s[46:47], 0x0
	s_mov_b64 s[50:51], -1
	s_waitcnt lgkmcnt(0)
	s_sub_i32 s52, s21, s8
	s_cmp_eq_u32 s52, s29
	s_cselect_b64 s[48:49], -1, 0
	s_cmp_lg_u32 s52, s29
                                        ; implicit-def: $sgpr21
	s_cbranch_scc1 .LBB23_21
; %bb.18:                               ;   in Loop: Header=BB23_17 Depth=2
	s_andn2_b64 vcc, exec, s[50:51]
	s_cbranch_vccz .LBB23_22
.LBB23_19:                              ;   in Loop: Header=BB23_17 Depth=2
	s_andn2_b64 vcc, exec, s[48:49]
	s_mov_b64 s[48:49], -1
	s_cbranch_vccnz .LBB23_39
.LBB23_20:                              ;   in Loop: Header=BB23_17 Depth=2
	s_add_i32 s20, s20, 1
	s_add_i32 s27, s27, s54
	s_add_u32 s46, s46, 4
	s_addc_u32 s47, s47, 0
	s_cmp_ge_i32 s20, s11
	s_cselect_b64 s[48:49], -1, 0
	s_andn2_b64 vcc, exec, s[48:49]
	s_cbranch_vccnz .LBB23_40
	s_branch .LBB23_46
.LBB23_21:                              ;   in Loop: Header=BB23_17 Depth=2
	s_min_i32 s21, s52, s55
	s_cbranch_execnz .LBB23_19
.LBB23_22:                              ;   in Loop: Header=BB23_17 Depth=2
	ds_write_b32 v5, v20 offset:8192
	s_and_saveexec_b64 s[50:51], s[38:39]
	s_cbranch_execz .LBB23_26
; %bb.23:                               ;   in Loop: Header=BB23_17 Depth=2
	s_and_b64 vcc, exec, s[30:31]
	s_cbranch_vccz .LBB23_41
; %bb.24:                               ;   in Loop: Header=BB23_17 Depth=2
	v_add_u32_e32 v4, s27, v8
	v_lshl_add_u64 v[26:27], v[4:5], 3, s[22:23]
	global_load_dwordx2 v[26:27], v[26:27], off
	s_waitcnt vmcnt(0)
	v_pk_mul_f32 v[28:29], v[26:27], s[34:35] op_sel:[1,0]
	s_nop 0
	v_pk_fma_f32 v[26:27], s[12:13], v[26:27], v[28:29] op_sel_hi:[1,0,1]
	ds_write_b64 v21, v[26:27]
	s_cbranch_execnz .LBB23_26
.LBB23_25:                              ;   in Loop: Header=BB23_17 Depth=2
	v_add_u32_e32 v4, s27, v16
	v_lshl_add_u64 v[26:27], v[4:5], 3, s[22:23]
	global_load_dwordx2 v[26:27], v[26:27], off
	s_waitcnt vmcnt(0)
	v_pk_mul_f32 v[28:29], v[26:27], s[34:35] op_sel:[1,0]
	s_nop 0
	v_pk_fma_f32 v[26:27], s[12:13], v[26:27], v[28:29] op_sel_hi:[1,0,1]
	ds_write_b64 v1, v[26:27]
.LBB23_26:                              ;   in Loop: Header=BB23_17 Depth=2
	s_or_b64 exec, exec, s[50:51]
	s_and_saveexec_b64 s[50:51], s[40:41]
	s_cbranch_execz .LBB23_30
; %bb.27:                               ;   in Loop: Header=BB23_17 Depth=2
	s_and_b64 vcc, exec, s[0:1]
	s_cbranch_vccnz .LBB23_42
; %bb.28:                               ;   in Loop: Header=BB23_17 Depth=2
	v_add_u32_e32 v4, s27, v10
	v_lshl_add_u64 v[26:27], v[4:5], 3, s[22:23]
	global_load_dwordx2 v[26:27], v[26:27], off
	s_waitcnt vmcnt(0)
	v_pk_mul_f32 v[28:29], v[26:27], s[34:35] op_sel:[1,0]
	s_nop 0
	v_pk_fma_f32 v[26:27], s[12:13], v[26:27], v[28:29] op_sel_hi:[1,0,1]
	ds_write_b64 v22, v[26:27]
	s_cbranch_execnz .LBB23_30
.LBB23_29:                              ;   in Loop: Header=BB23_17 Depth=2
	v_add3_u32 v4, v16, s27, 8
	v_lshl_add_u64 v[26:27], v[4:5], 3, s[22:23]
	global_load_dwordx2 v[26:27], v[26:27], off
	s_waitcnt vmcnt(0)
	v_pk_mul_f32 v[28:29], v[26:27], s[34:35] op_sel:[1,0]
	s_nop 0
	v_pk_fma_f32 v[26:27], s[12:13], v[26:27], v[28:29] op_sel_hi:[1,0,1]
	ds_write_b64 v1, v[26:27] offset:64
.LBB23_30:                              ;   in Loop: Header=BB23_17 Depth=2
	s_or_b64 exec, exec, s[50:51]
	s_and_saveexec_b64 s[50:51], s[42:43]
	s_cbranch_execz .LBB23_34
; %bb.31:                               ;   in Loop: Header=BB23_17 Depth=2
	s_and_b64 vcc, exec, s[0:1]
	s_cbranch_vccnz .LBB23_43
; %bb.32:                               ;   in Loop: Header=BB23_17 Depth=2
	v_add_u32_e32 v4, s27, v12
	v_lshl_add_u64 v[26:27], v[4:5], 3, s[22:23]
	global_load_dwordx2 v[26:27], v[26:27], off
	s_waitcnt vmcnt(0)
	v_pk_mul_f32 v[28:29], v[26:27], s[34:35] op_sel:[1,0]
	s_nop 0
	v_pk_fma_f32 v[26:27], s[12:13], v[26:27], v[28:29] op_sel_hi:[1,0,1]
	ds_write_b64 v23, v[26:27]
	s_cbranch_execnz .LBB23_34
.LBB23_33:                              ;   in Loop: Header=BB23_17 Depth=2
	v_add3_u32 v4, v16, s27, 16
	v_lshl_add_u64 v[26:27], v[4:5], 3, s[22:23]
	global_load_dwordx2 v[26:27], v[26:27], off
	s_waitcnt vmcnt(0)
	v_pk_mul_f32 v[28:29], v[26:27], s[34:35] op_sel:[1,0]
	s_nop 0
	v_pk_fma_f32 v[26:27], s[12:13], v[26:27], v[28:29] op_sel_hi:[1,0,1]
	ds_write_b64 v1, v[26:27] offset:128
.LBB23_34:                              ;   in Loop: Header=BB23_17 Depth=2
	s_or_b64 exec, exec, s[50:51]
	s_and_saveexec_b64 s[50:51], s[44:45]
	s_cbranch_execz .LBB23_38
; %bb.35:                               ;   in Loop: Header=BB23_17 Depth=2
	s_and_b64 vcc, exec, s[0:1]
	s_cbranch_vccnz .LBB23_44
; %bb.36:                               ;   in Loop: Header=BB23_17 Depth=2
	v_add_u32_e32 v4, s27, v14
	v_lshl_add_u64 v[26:27], v[4:5], 3, s[22:23]
	global_load_dwordx2 v[26:27], v[26:27], off
	s_waitcnt vmcnt(0)
	v_pk_mul_f32 v[28:29], v[26:27], s[34:35] op_sel:[1,0]
	s_nop 0
	v_pk_fma_f32 v[26:27], s[12:13], v[26:27], v[28:29] op_sel_hi:[1,0,1]
	ds_write_b64 v24, v[26:27]
	s_cbranch_execnz .LBB23_38
.LBB23_37:                              ;   in Loop: Header=BB23_17 Depth=2
	v_add3_u32 v4, v16, s27, 24
	v_lshl_add_u64 v[26:27], v[4:5], 3, s[22:23]
	global_load_dwordx2 v[26:27], v[26:27], off
	s_waitcnt vmcnt(0)
	v_pk_mul_f32 v[28:29], v[26:27], s[34:35] op_sel:[1,0]
	s_nop 0
	v_pk_fma_f32 v[26:27], s[12:13], v[26:27], v[28:29] op_sel_hi:[1,0,1]
	ds_write_b64 v1, v[26:27] offset:192
.LBB23_38:                              ;   in Loop: Header=BB23_17 Depth=2
	s_or_b64 exec, exec, s[50:51]
	s_mov_b32 s21, s55
	s_andn2_b64 vcc, exec, s[48:49]
	s_mov_b64 s[48:49], -1
	s_cbranch_vccz .LBB23_20
.LBB23_39:                              ;   in Loop: Header=BB23_17 Depth=2
                                        ; implicit-def: $sgpr27
                                        ; implicit-def: $sgpr46_sgpr47
	s_andn2_b64 vcc, exec, s[48:49]
	s_cbranch_vccz .LBB23_46
.LBB23_40:                              ;   in Loop: Header=BB23_17 Depth=2
	s_mov_b32 s55, s21
	s_branch .LBB23_17
.LBB23_41:                              ;   in Loop: Header=BB23_17 Depth=2
	s_branch .LBB23_25
.LBB23_42:                              ;   in Loop: Header=BB23_17 Depth=2
	s_branch .LBB23_29
.LBB23_43:                              ;   in Loop: Header=BB23_17 Depth=2
	s_branch .LBB23_33
.LBB23_44:                              ;   in Loop: Header=BB23_17 Depth=2
	s_branch .LBB23_37
.LBB23_45:                              ;   in Loop: Header=BB23_15 Depth=1
	s_mov_b32 s21, s18
.LBB23_46:                              ;   in Loop: Header=BB23_15 Depth=1
	s_cmp_ge_i32 s26, s33
	s_waitcnt lgkmcnt(0)
	s_barrier
	s_cbranch_scc1 .LBB23_76
; %bb.47:                               ;   in Loop: Header=BB23_15 Depth=1
	s_mul_i32 s27, s19, s26
	v_add_u32_e32 v4, s27, v2
	v_mad_u64_u32 v[8:9], s[46:47], s19, v4, v[0:1]
	v_add_u32_e32 v4, s27, v3
	v_mad_u64_u32 v[10:11], s[46:47], s19, v4, v[0:1]
	;; [unrolled: 2-line block ×5, first 2 shown]
	s_ashr_i32 s27, s26, 31
	s_lshl_b64 s[46:47], s[26:27], 2
	s_add_u32 s46, s2, s46
	s_addc_u32 s47, s3, s47
	s_mov_b32 s55, 0
.LBB23_48:                              ;   Parent Loop BB23_15 Depth=1
                                        ; =>  This Inner Loop Header: Depth=2
	s_load_dword s27, s[46:47], 0x0
	s_mov_b64 s[50:51], -1
	s_waitcnt lgkmcnt(0)
	s_sub_i32 s52, s27, s9
	s_cmp_eq_u32 s52, s29
	s_cselect_b64 s[48:49], -1, 0
	s_cmp_lg_u32 s52, s29
                                        ; implicit-def: $sgpr27
	s_cbranch_scc1 .LBB23_52
; %bb.49:                               ;   in Loop: Header=BB23_48 Depth=2
	s_andn2_b64 vcc, exec, s[50:51]
	s_cbranch_vccz .LBB23_53
.LBB23_50:                              ;   in Loop: Header=BB23_48 Depth=2
	s_andn2_b64 vcc, exec, s[48:49]
	s_mov_b64 s[48:49], -1
	s_cbranch_vccnz .LBB23_70
.LBB23_51:                              ;   in Loop: Header=BB23_48 Depth=2
	s_add_i32 s26, s26, 1
	s_add_i32 s55, s55, s54
	s_add_u32 s46, s46, 4
	s_addc_u32 s47, s47, 0
	s_cmp_ge_i32 s26, s33
	s_cselect_b64 s[48:49], -1, 0
	s_andn2_b64 vcc, exec, s[48:49]
	s_cbranch_vccnz .LBB23_71
	s_branch .LBB23_77
.LBB23_52:                              ;   in Loop: Header=BB23_48 Depth=2
	s_min_i32 s27, s52, s21
	s_cbranch_execnz .LBB23_50
.LBB23_53:                              ;   in Loop: Header=BB23_48 Depth=2
	ds_write_b32 v5, v20 offset:8192
	s_and_saveexec_b64 s[50:51], s[38:39]
	s_cbranch_execz .LBB23_57
; %bb.54:                               ;   in Loop: Header=BB23_48 Depth=2
	s_and_b64 vcc, exec, s[30:31]
	s_cbranch_vccz .LBB23_72
; %bb.55:                               ;   in Loop: Header=BB23_48 Depth=2
	v_add_u32_e32 v4, s55, v8
	v_lshl_add_u64 v[26:27], v[4:5], 3, s[24:25]
	global_load_dwordx2 v[26:27], v[26:27], off
	ds_read_b64 v[28:29], v21
	s_waitcnt vmcnt(0) lgkmcnt(0)
	v_pk_fma_f32 v[28:29], s[14:15], v[26:27], v[28:29] op_sel_hi:[1,0,1]
	s_nop 0
	v_pk_fma_f32 v[26:27], s[36:37], v[26:27], v[28:29] op_sel:[0,1,0]
	ds_write_b64 v21, v[26:27]
	s_cbranch_execnz .LBB23_57
.LBB23_56:                              ;   in Loop: Header=BB23_48 Depth=2
	v_add_u32_e32 v4, s55, v16
	v_lshl_add_u64 v[26:27], v[4:5], 3, s[24:25]
	global_load_dwordx2 v[26:27], v[26:27], off
	ds_read_b64 v[28:29], v1
	s_waitcnt vmcnt(0) lgkmcnt(0)
	v_pk_fma_f32 v[28:29], s[14:15], v[26:27], v[28:29] op_sel_hi:[1,0,1]
	s_nop 0
	v_pk_fma_f32 v[26:27], s[36:37], v[26:27], v[28:29] op_sel:[0,1,0]
	ds_write_b64 v1, v[26:27]
.LBB23_57:                              ;   in Loop: Header=BB23_48 Depth=2
	s_or_b64 exec, exec, s[50:51]
	s_and_saveexec_b64 s[50:51], s[40:41]
	s_cbranch_execz .LBB23_61
; %bb.58:                               ;   in Loop: Header=BB23_48 Depth=2
	s_and_b64 vcc, exec, s[0:1]
	s_cbranch_vccnz .LBB23_73
; %bb.59:                               ;   in Loop: Header=BB23_48 Depth=2
	v_add_u32_e32 v4, s55, v10
	v_lshl_add_u64 v[26:27], v[4:5], 3, s[24:25]
	global_load_dwordx2 v[26:27], v[26:27], off
	ds_read_b64 v[28:29], v22
	s_waitcnt vmcnt(0) lgkmcnt(0)
	v_pk_fma_f32 v[28:29], s[14:15], v[26:27], v[28:29] op_sel_hi:[1,0,1]
	s_nop 0
	v_pk_fma_f32 v[26:27], s[36:37], v[26:27], v[28:29] op_sel:[0,1,0]
	ds_write_b64 v22, v[26:27]
	s_cbranch_execnz .LBB23_61
.LBB23_60:                              ;   in Loop: Header=BB23_48 Depth=2
	v_add3_u32 v4, v16, s55, 8
	v_lshl_add_u64 v[26:27], v[4:5], 3, s[24:25]
	global_load_dwordx2 v[26:27], v[26:27], off
	ds_read_b64 v[28:29], v1 offset:64
	s_waitcnt vmcnt(0) lgkmcnt(0)
	v_pk_fma_f32 v[28:29], s[14:15], v[26:27], v[28:29] op_sel_hi:[1,0,1]
	s_nop 0
	v_pk_fma_f32 v[26:27], s[36:37], v[26:27], v[28:29] op_sel:[0,1,0]
	ds_write_b64 v1, v[26:27] offset:64
.LBB23_61:                              ;   in Loop: Header=BB23_48 Depth=2
	s_or_b64 exec, exec, s[50:51]
	s_and_saveexec_b64 s[50:51], s[42:43]
	s_cbranch_execz .LBB23_65
; %bb.62:                               ;   in Loop: Header=BB23_48 Depth=2
	s_and_b64 vcc, exec, s[0:1]
	s_cbranch_vccnz .LBB23_74
; %bb.63:                               ;   in Loop: Header=BB23_48 Depth=2
	v_add_u32_e32 v4, s55, v12
	v_lshl_add_u64 v[26:27], v[4:5], 3, s[24:25]
	global_load_dwordx2 v[26:27], v[26:27], off
	ds_read_b64 v[28:29], v23
	s_waitcnt vmcnt(0) lgkmcnt(0)
	v_pk_fma_f32 v[28:29], s[14:15], v[26:27], v[28:29] op_sel_hi:[1,0,1]
	s_nop 0
	v_pk_fma_f32 v[26:27], s[36:37], v[26:27], v[28:29] op_sel:[0,1,0]
	ds_write_b64 v23, v[26:27]
	s_cbranch_execnz .LBB23_65
.LBB23_64:                              ;   in Loop: Header=BB23_48 Depth=2
	v_add3_u32 v4, v16, s55, 16
	v_lshl_add_u64 v[26:27], v[4:5], 3, s[24:25]
	global_load_dwordx2 v[26:27], v[26:27], off
	ds_read_b64 v[28:29], v1 offset:128
	s_waitcnt vmcnt(0) lgkmcnt(0)
	v_pk_fma_f32 v[28:29], s[14:15], v[26:27], v[28:29] op_sel_hi:[1,0,1]
	s_nop 0
	v_pk_fma_f32 v[26:27], s[36:37], v[26:27], v[28:29] op_sel:[0,1,0]
	ds_write_b64 v1, v[26:27] offset:128
.LBB23_65:                              ;   in Loop: Header=BB23_48 Depth=2
	s_or_b64 exec, exec, s[50:51]
	s_and_saveexec_b64 s[50:51], s[44:45]
	s_cbranch_execz .LBB23_69
; %bb.66:                               ;   in Loop: Header=BB23_48 Depth=2
	s_and_b64 vcc, exec, s[0:1]
	s_cbranch_vccnz .LBB23_75
; %bb.67:                               ;   in Loop: Header=BB23_48 Depth=2
	v_add_u32_e32 v4, s55, v14
	v_lshl_add_u64 v[26:27], v[4:5], 3, s[24:25]
	global_load_dwordx2 v[26:27], v[26:27], off
	ds_read_b64 v[28:29], v24
	s_waitcnt vmcnt(0) lgkmcnt(0)
	v_pk_fma_f32 v[28:29], s[14:15], v[26:27], v[28:29] op_sel_hi:[1,0,1]
	s_nop 0
	v_pk_fma_f32 v[26:27], s[36:37], v[26:27], v[28:29] op_sel:[0,1,0]
	ds_write_b64 v24, v[26:27]
	s_cbranch_execnz .LBB23_69
.LBB23_68:                              ;   in Loop: Header=BB23_48 Depth=2
	v_add3_u32 v4, v16, s55, 24
	v_lshl_add_u64 v[26:27], v[4:5], 3, s[24:25]
	global_load_dwordx2 v[26:27], v[26:27], off
	ds_read_b64 v[28:29], v1 offset:192
	s_waitcnt vmcnt(0) lgkmcnt(0)
	v_pk_fma_f32 v[28:29], s[14:15], v[26:27], v[28:29] op_sel_hi:[1,0,1]
	s_nop 0
	v_pk_fma_f32 v[26:27], s[36:37], v[26:27], v[28:29] op_sel:[0,1,0]
	ds_write_b64 v1, v[26:27] offset:192
.LBB23_69:                              ;   in Loop: Header=BB23_48 Depth=2
	s_or_b64 exec, exec, s[50:51]
	s_mov_b32 s27, s21
	s_andn2_b64 vcc, exec, s[48:49]
	s_mov_b64 s[48:49], -1
	s_cbranch_vccz .LBB23_51
.LBB23_70:                              ;   in Loop: Header=BB23_48 Depth=2
                                        ; implicit-def: $sgpr55
                                        ; implicit-def: $sgpr46_sgpr47
	s_andn2_b64 vcc, exec, s[48:49]
	s_cbranch_vccz .LBB23_77
.LBB23_71:                              ;   in Loop: Header=BB23_48 Depth=2
	s_mov_b32 s21, s27
	s_branch .LBB23_48
.LBB23_72:                              ;   in Loop: Header=BB23_48 Depth=2
	s_branch .LBB23_56
.LBB23_73:                              ;   in Loop: Header=BB23_48 Depth=2
	s_branch .LBB23_60
.LBB23_74:                              ;   in Loop: Header=BB23_48 Depth=2
	s_branch .LBB23_64
.LBB23_75:                              ;   in Loop: Header=BB23_48 Depth=2
	s_branch .LBB23_68
.LBB23_76:                              ;   in Loop: Header=BB23_15 Depth=1
	s_mov_b32 s27, s21
.LBB23_77:                              ;   in Loop: Header=BB23_15 Depth=1
	s_waitcnt lgkmcnt(0)
	s_barrier
	ds_read_b32 v4, v5 offset:8192
	s_waitcnt lgkmcnt(0)
	v_cmp_eq_u32_e32 vcc, 0, v4
	s_cbranch_vccnz .LBB23_14
; %bb.78:                               ;   in Loop: Header=BB23_15 Depth=1
	s_add_i32 s21, s29, s10
	s_ashr_i32 s29, s28, 31
	s_lshl_b64 s[46:47], s[28:29], 2
	s_add_u32 s46, s4, s46
	s_addc_u32 s47, s5, s47
	v_mov_b32_e32 v4, s21
	s_mul_i32 s21, s28, s19
	global_store_dword v5, v4, s[46:47]
	v_add_u32_e32 v4, s21, v0
	v_mul_lo_u32 v8, v4, s19
	s_and_saveexec_b64 s[46:47], s[38:39]
	s_cbranch_execz .LBB23_82
; %bb.79:                               ;   in Loop: Header=BB23_15 Depth=1
	s_and_b64 vcc, exec, s[30:31]
	s_cbranch_vccz .LBB23_93
; %bb.80:                               ;   in Loop: Header=BB23_15 Depth=1
	ds_read_b64 v[10:11], v21
	v_add_u32_e32 v4, s21, v2
	v_mad_u64_u32 v[12:13], s[48:49], v4, s19, v[0:1]
	v_mov_b32_e32 v13, v5
	v_lshl_add_u64 v[12:13], v[12:13], 3, s[6:7]
	s_waitcnt lgkmcnt(0)
	global_store_dwordx2 v[12:13], v[10:11], off
	s_cbranch_execnz .LBB23_82
.LBB23_81:                              ;   in Loop: Header=BB23_15 Depth=1
	ds_read_b64 v[10:11], v1
	v_add_u32_e32 v4, v8, v2
	v_lshl_add_u64 v[12:13], v[4:5], 3, s[6:7]
	s_waitcnt lgkmcnt(0)
	global_store_dwordx2 v[12:13], v[10:11], off
.LBB23_82:                              ;   in Loop: Header=BB23_15 Depth=1
	s_or_b64 exec, exec, s[46:47]
	s_and_saveexec_b64 s[46:47], s[40:41]
	s_cbranch_execz .LBB23_86
; %bb.83:                               ;   in Loop: Header=BB23_15 Depth=1
	s_and_b64 vcc, exec, s[0:1]
	s_cbranch_vccnz .LBB23_94
; %bb.84:                               ;   in Loop: Header=BB23_15 Depth=1
	ds_read_b64 v[10:11], v22
	v_add_u32_e32 v4, s21, v3
	v_mad_u64_u32 v[12:13], s[48:49], v4, s19, v[0:1]
	v_mov_b32_e32 v13, v5
	v_lshl_add_u64 v[12:13], v[12:13], 3, s[6:7]
	s_waitcnt lgkmcnt(0)
	global_store_dwordx2 v[12:13], v[10:11], off
	s_cbranch_execnz .LBB23_86
.LBB23_85:                              ;   in Loop: Header=BB23_15 Depth=1
	ds_read_b64 v[10:11], v1 offset:64
	v_add_u32_e32 v4, v8, v3
	v_lshl_add_u64 v[12:13], v[4:5], 3, s[6:7]
	s_waitcnt lgkmcnt(0)
	global_store_dwordx2 v[12:13], v[10:11], off
.LBB23_86:                              ;   in Loop: Header=BB23_15 Depth=1
	s_or_b64 exec, exec, s[46:47]
	s_and_saveexec_b64 s[46:47], s[42:43]
	s_cbranch_execz .LBB23_90
; %bb.87:                               ;   in Loop: Header=BB23_15 Depth=1
	s_and_b64 vcc, exec, s[0:1]
	s_cbranch_vccnz .LBB23_95
; %bb.88:                               ;   in Loop: Header=BB23_15 Depth=1
	ds_read_b64 v[10:11], v23
	v_add_u32_e32 v4, s21, v18
	v_mad_u64_u32 v[12:13], s[48:49], v4, s19, v[0:1]
	v_mov_b32_e32 v13, v5
	v_lshl_add_u64 v[12:13], v[12:13], 3, s[6:7]
	s_waitcnt lgkmcnt(0)
	global_store_dwordx2 v[12:13], v[10:11], off
	s_cbranch_execnz .LBB23_90
.LBB23_89:                              ;   in Loop: Header=BB23_15 Depth=1
	ds_read_b64 v[10:11], v1 offset:128
	v_add_u32_e32 v4, v8, v18
	v_lshl_add_u64 v[12:13], v[4:5], 3, s[6:7]
	s_waitcnt lgkmcnt(0)
	global_store_dwordx2 v[12:13], v[10:11], off
.LBB23_90:                              ;   in Loop: Header=BB23_15 Depth=1
	s_or_b64 exec, exec, s[46:47]
	s_and_saveexec_b64 s[46:47], s[44:45]
	s_cbranch_execz .LBB23_13
; %bb.91:                               ;   in Loop: Header=BB23_15 Depth=1
	s_and_b64 vcc, exec, s[0:1]
	s_cbranch_vccnz .LBB23_96
; %bb.92:                               ;   in Loop: Header=BB23_15 Depth=1
	ds_read_b64 v[10:11], v24
	v_add_u32_e32 v4, s21, v19
	v_mad_u64_u32 v[12:13], s[48:49], v4, s19, v[0:1]
	v_mov_b32_e32 v13, v5
	v_lshl_add_u64 v[12:13], v[12:13], 3, s[6:7]
	s_waitcnt lgkmcnt(0)
	global_store_dwordx2 v[12:13], v[10:11], off
	s_cbranch_execnz .LBB23_13
	s_branch .LBB23_97
.LBB23_93:                              ;   in Loop: Header=BB23_15 Depth=1
	s_branch .LBB23_81
.LBB23_94:                              ;   in Loop: Header=BB23_15 Depth=1
	s_branch .LBB23_85
.LBB23_95:                              ;   in Loop: Header=BB23_15 Depth=1
	s_branch .LBB23_89
.LBB23_96:                              ;   in Loop: Header=BB23_15 Depth=1
.LBB23_97:                              ;   in Loop: Header=BB23_15 Depth=1
	ds_read_b64 v[10:11], v1 offset:192
	v_add_u32_e32 v4, v8, v19
	v_lshl_add_u64 v[8:9], v[4:5], 3, s[6:7]
	s_waitcnt lgkmcnt(0)
	global_store_dwordx2 v[8:9], v[10:11], off
	s_branch .LBB23_13
.LBB23_98:
	s_endpgm
	.section	.rodata,"a",@progbits
	.p2align	6, 0x0
	.amdhsa_kernel _ZN9rocsparseL39bsrgeam_block_per_row_multipass_kernel2ILj256ELj32E21rocsparse_complex_numIfEEEv20rocsparse_direction_iiiNS_24const_host_device_scalarIT1_EEPKiS8_PKS5_S6_S8_S8_SA_S8_PiPS5_21rocsparse_index_base_SD_SD_b
		.amdhsa_group_segment_fixed_size 8196
		.amdhsa_private_segment_fixed_size 0
		.amdhsa_kernarg_size 120
		.amdhsa_user_sgpr_count 2
		.amdhsa_user_sgpr_dispatch_ptr 0
		.amdhsa_user_sgpr_queue_ptr 0
		.amdhsa_user_sgpr_kernarg_segment_ptr 1
		.amdhsa_user_sgpr_dispatch_id 0
		.amdhsa_user_sgpr_kernarg_preload_length 0
		.amdhsa_user_sgpr_kernarg_preload_offset 0
		.amdhsa_user_sgpr_private_segment_size 0
		.amdhsa_uses_dynamic_stack 0
		.amdhsa_enable_private_segment 0
		.amdhsa_system_sgpr_workgroup_id_x 1
		.amdhsa_system_sgpr_workgroup_id_y 0
		.amdhsa_system_sgpr_workgroup_id_z 0
		.amdhsa_system_sgpr_workgroup_info 0
		.amdhsa_system_vgpr_workitem_id 0
		.amdhsa_next_free_vgpr 30
		.amdhsa_next_free_sgpr 56
		.amdhsa_accum_offset 32
		.amdhsa_reserve_vcc 1
		.amdhsa_float_round_mode_32 0
		.amdhsa_float_round_mode_16_64 0
		.amdhsa_float_denorm_mode_32 3
		.amdhsa_float_denorm_mode_16_64 3
		.amdhsa_dx10_clamp 1
		.amdhsa_ieee_mode 1
		.amdhsa_fp16_overflow 0
		.amdhsa_tg_split 0
		.amdhsa_exception_fp_ieee_invalid_op 0
		.amdhsa_exception_fp_denorm_src 0
		.amdhsa_exception_fp_ieee_div_zero 0
		.amdhsa_exception_fp_ieee_overflow 0
		.amdhsa_exception_fp_ieee_underflow 0
		.amdhsa_exception_fp_ieee_inexact 0
		.amdhsa_exception_int_div_zero 0
	.end_amdhsa_kernel
	.section	.text._ZN9rocsparseL39bsrgeam_block_per_row_multipass_kernel2ILj256ELj32E21rocsparse_complex_numIfEEEv20rocsparse_direction_iiiNS_24const_host_device_scalarIT1_EEPKiS8_PKS5_S6_S8_S8_SA_S8_PiPS5_21rocsparse_index_base_SD_SD_b,"axG",@progbits,_ZN9rocsparseL39bsrgeam_block_per_row_multipass_kernel2ILj256ELj32E21rocsparse_complex_numIfEEEv20rocsparse_direction_iiiNS_24const_host_device_scalarIT1_EEPKiS8_PKS5_S6_S8_S8_SA_S8_PiPS5_21rocsparse_index_base_SD_SD_b,comdat
.Lfunc_end23:
	.size	_ZN9rocsparseL39bsrgeam_block_per_row_multipass_kernel2ILj256ELj32E21rocsparse_complex_numIfEEEv20rocsparse_direction_iiiNS_24const_host_device_scalarIT1_EEPKiS8_PKS5_S6_S8_S8_SA_S8_PiPS5_21rocsparse_index_base_SD_SD_b, .Lfunc_end23-_ZN9rocsparseL39bsrgeam_block_per_row_multipass_kernel2ILj256ELj32E21rocsparse_complex_numIfEEEv20rocsparse_direction_iiiNS_24const_host_device_scalarIT1_EEPKiS8_PKS5_S6_S8_S8_SA_S8_PiPS5_21rocsparse_index_base_SD_SD_b
                                        ; -- End function
	.set _ZN9rocsparseL39bsrgeam_block_per_row_multipass_kernel2ILj256ELj32E21rocsparse_complex_numIfEEEv20rocsparse_direction_iiiNS_24const_host_device_scalarIT1_EEPKiS8_PKS5_S6_S8_S8_SA_S8_PiPS5_21rocsparse_index_base_SD_SD_b.num_vgpr, 30
	.set _ZN9rocsparseL39bsrgeam_block_per_row_multipass_kernel2ILj256ELj32E21rocsparse_complex_numIfEEEv20rocsparse_direction_iiiNS_24const_host_device_scalarIT1_EEPKiS8_PKS5_S6_S8_S8_SA_S8_PiPS5_21rocsparse_index_base_SD_SD_b.num_agpr, 0
	.set _ZN9rocsparseL39bsrgeam_block_per_row_multipass_kernel2ILj256ELj32E21rocsparse_complex_numIfEEEv20rocsparse_direction_iiiNS_24const_host_device_scalarIT1_EEPKiS8_PKS5_S6_S8_S8_SA_S8_PiPS5_21rocsparse_index_base_SD_SD_b.numbered_sgpr, 56
	.set _ZN9rocsparseL39bsrgeam_block_per_row_multipass_kernel2ILj256ELj32E21rocsparse_complex_numIfEEEv20rocsparse_direction_iiiNS_24const_host_device_scalarIT1_EEPKiS8_PKS5_S6_S8_S8_SA_S8_PiPS5_21rocsparse_index_base_SD_SD_b.num_named_barrier, 0
	.set _ZN9rocsparseL39bsrgeam_block_per_row_multipass_kernel2ILj256ELj32E21rocsparse_complex_numIfEEEv20rocsparse_direction_iiiNS_24const_host_device_scalarIT1_EEPKiS8_PKS5_S6_S8_S8_SA_S8_PiPS5_21rocsparse_index_base_SD_SD_b.private_seg_size, 0
	.set _ZN9rocsparseL39bsrgeam_block_per_row_multipass_kernel2ILj256ELj32E21rocsparse_complex_numIfEEEv20rocsparse_direction_iiiNS_24const_host_device_scalarIT1_EEPKiS8_PKS5_S6_S8_S8_SA_S8_PiPS5_21rocsparse_index_base_SD_SD_b.uses_vcc, 1
	.set _ZN9rocsparseL39bsrgeam_block_per_row_multipass_kernel2ILj256ELj32E21rocsparse_complex_numIfEEEv20rocsparse_direction_iiiNS_24const_host_device_scalarIT1_EEPKiS8_PKS5_S6_S8_S8_SA_S8_PiPS5_21rocsparse_index_base_SD_SD_b.uses_flat_scratch, 0
	.set _ZN9rocsparseL39bsrgeam_block_per_row_multipass_kernel2ILj256ELj32E21rocsparse_complex_numIfEEEv20rocsparse_direction_iiiNS_24const_host_device_scalarIT1_EEPKiS8_PKS5_S6_S8_S8_SA_S8_PiPS5_21rocsparse_index_base_SD_SD_b.has_dyn_sized_stack, 0
	.set _ZN9rocsparseL39bsrgeam_block_per_row_multipass_kernel2ILj256ELj32E21rocsparse_complex_numIfEEEv20rocsparse_direction_iiiNS_24const_host_device_scalarIT1_EEPKiS8_PKS5_S6_S8_S8_SA_S8_PiPS5_21rocsparse_index_base_SD_SD_b.has_recursion, 0
	.set _ZN9rocsparseL39bsrgeam_block_per_row_multipass_kernel2ILj256ELj32E21rocsparse_complex_numIfEEEv20rocsparse_direction_iiiNS_24const_host_device_scalarIT1_EEPKiS8_PKS5_S6_S8_S8_SA_S8_PiPS5_21rocsparse_index_base_SD_SD_b.has_indirect_call, 0
	.section	.AMDGPU.csdata,"",@progbits
; Kernel info:
; codeLenInByte = 2804
; TotalNumSgprs: 62
; NumVgprs: 30
; NumAgprs: 0
; TotalNumVgprs: 30
; ScratchSize: 0
; MemoryBound: 0
; FloatMode: 240
; IeeeMode: 1
; LDSByteSize: 8196 bytes/workgroup (compile time only)
; SGPRBlocks: 7
; VGPRBlocks: 3
; NumSGPRsForWavesPerEU: 62
; NumVGPRsForWavesPerEU: 30
; AccumOffset: 32
; Occupancy: 8
; WaveLimiterHint : 1
; COMPUTE_PGM_RSRC2:SCRATCH_EN: 0
; COMPUTE_PGM_RSRC2:USER_SGPR: 2
; COMPUTE_PGM_RSRC2:TRAP_HANDLER: 0
; COMPUTE_PGM_RSRC2:TGID_X_EN: 1
; COMPUTE_PGM_RSRC2:TGID_Y_EN: 0
; COMPUTE_PGM_RSRC2:TGID_Z_EN: 0
; COMPUTE_PGM_RSRC2:TIDIG_COMP_CNT: 0
; COMPUTE_PGM_RSRC3_GFX90A:ACCUM_OFFSET: 7
; COMPUTE_PGM_RSRC3_GFX90A:TG_SPLIT: 0
	.section	.text._ZN9rocsparseL39bsrgeam_wf_per_row_multipass_2_3_kernelILj256ELj2ELj32E21rocsparse_complex_numIdEEEv20rocsparse_direction_iiiNS_24const_host_device_scalarIT2_EEPKiS8_PKS5_S6_S8_S8_SA_S8_PiPS5_21rocsparse_index_base_SD_SD_b,"axG",@progbits,_ZN9rocsparseL39bsrgeam_wf_per_row_multipass_2_3_kernelILj256ELj2ELj32E21rocsparse_complex_numIdEEEv20rocsparse_direction_iiiNS_24const_host_device_scalarIT2_EEPKiS8_PKS5_S6_S8_S8_SA_S8_PiPS5_21rocsparse_index_base_SD_SD_b,comdat
	.globl	_ZN9rocsparseL39bsrgeam_wf_per_row_multipass_2_3_kernelILj256ELj2ELj32E21rocsparse_complex_numIdEEEv20rocsparse_direction_iiiNS_24const_host_device_scalarIT2_EEPKiS8_PKS5_S6_S8_S8_SA_S8_PiPS5_21rocsparse_index_base_SD_SD_b ; -- Begin function _ZN9rocsparseL39bsrgeam_wf_per_row_multipass_2_3_kernelILj256ELj2ELj32E21rocsparse_complex_numIdEEEv20rocsparse_direction_iiiNS_24const_host_device_scalarIT2_EEPKiS8_PKS5_S6_S8_S8_SA_S8_PiPS5_21rocsparse_index_base_SD_SD_b
	.p2align	8
	.type	_ZN9rocsparseL39bsrgeam_wf_per_row_multipass_2_3_kernelILj256ELj2ELj32E21rocsparse_complex_numIdEEEv20rocsparse_direction_iiiNS_24const_host_device_scalarIT2_EEPKiS8_PKS5_S6_S8_S8_SA_S8_PiPS5_21rocsparse_index_base_SD_SD_b,@function
_ZN9rocsparseL39bsrgeam_wf_per_row_multipass_2_3_kernelILj256ELj2ELj32E21rocsparse_complex_numIdEEEv20rocsparse_direction_iiiNS_24const_host_device_scalarIT2_EEPKiS8_PKS5_S6_S8_S8_SA_S8_PiPS5_21rocsparse_index_base_SD_SD_b: ; @_ZN9rocsparseL39bsrgeam_wf_per_row_multipass_2_3_kernelILj256ELj2ELj32E21rocsparse_complex_numIdEEEv20rocsparse_direction_iiiNS_24const_host_device_scalarIT2_EEPKiS8_PKS5_S6_S8_S8_SA_S8_PiPS5_21rocsparse_index_base_SD_SD_b
; %bb.0:
	s_load_dwordx4 s[4:7], s[0:1], 0x78
	s_load_dwordx4 s[8:11], s[0:1], 0x10
	s_mov_b64 s[12:13], src_private_base
	s_waitcnt lgkmcnt(0)
	s_bitcmp1_b32 s7, 0
	s_cselect_b64 s[20:21], -1, 0
	s_and_b64 vcc, s[20:21], exec
	v_mov_b64_e32 v[2:3], s[8:9]
	s_cselect_b32 s3, s13, s9
	s_cselect_b32 s7, 0, s8
	scratch_store_dwordx2 off, v[2:3], off
	v_mov_b32_e32 v2, s7
	v_mov_b32_e32 v3, s3
	flat_load_dwordx2 v[10:11], v[2:3]
	v_mov_b64_e32 v[12:13], s[10:11]
	s_cbranch_vccnz .LBB24_2
; %bb.1:
	v_mov_b64_e32 v[2:3], s[8:9]
	flat_load_dwordx2 v[12:13], v[2:3] offset:8
.LBB24_2:
	s_load_dwordx4 s[8:11], s[0:1], 0x0
	s_lshl_b32 s2, s2, 3
	v_lshrrev_b32_e32 v1, 5, v0
	s_and_b32 s2, s2, 0x7fffff8
	v_or_b32_e32 v2, s2, v1
	s_waitcnt lgkmcnt(0)
	v_cmp_gt_i32_e32 vcc, s9, v2
	s_and_saveexec_b64 s[2:3], vcc
	s_cbranch_execz .LBB24_37
; %bb.3:
	s_load_dwordx4 s[12:15], s[0:1], 0x20
	s_load_dwordx2 s[2:3], s[0:1], 0x38
	s_load_dwordx2 s[22:23], s[0:1], 0x60
	s_load_dwordx4 s[16:19], s[0:1], 0x48
	s_add_u32 s7, s0, 56
	s_addc_u32 s9, s1, 0
	s_and_b64 s[20:21], s[20:21], exec
	s_waitcnt lgkmcnt(0)
	s_cselect_b32 s3, s9, s3
	s_cselect_b32 s2, s7, s2
	v_lshlrev_b32_e32 v16, 2, v2
	v_mov_b32_e32 v14, s2
	v_mov_b32_e32 v15, s3
	global_load_dwordx2 v[6:7], v16, s[12:13]
	global_load_dwordx2 v[8:9], v16, s[16:17]
	global_load_dword v18, v16, s[22:23]
	flat_load_dwordx4 v[2:5], v[14:15]
	s_waitcnt vmcnt(0)
	v_subrev_u32_e32 v14, s4, v6
	v_cmp_lt_i32_e32 vcc, v6, v7
	v_mov_b32_e32 v6, s10
	s_and_saveexec_b64 s[2:3], vcc
	s_cbranch_execz .LBB24_5
; %bb.4:
	v_ashrrev_i32_e32 v15, 31, v14
	v_lshl_add_u64 v[16:17], v[14:15], 2, s[14:15]
	global_load_dword v6, v[16:17], off
	s_waitcnt vmcnt(0)
	v_subrev_u32_e32 v6, s4, v6
.LBB24_5:
	s_or_b64 exec, exec, s[2:3]
	s_load_dwordx4 s[20:23], s[0:1], 0x68
	s_load_dwordx2 s[12:13], s[0:1], 0x58
	s_load_dwordx2 s[16:17], s[0:1], 0x30
	v_subrev_u32_e32 v16, s5, v8
	v_cmp_lt_i32_e32 vcc, v8, v9
	v_mov_b32_e32 v8, s10
	s_and_saveexec_b64 s[0:1], vcc
	s_cbranch_execz .LBB24_7
; %bb.6:
	v_ashrrev_i32_e32 v17, 31, v16
	v_lshl_add_u64 v[20:21], v[16:17], 2, s[18:19]
	global_load_dword v8, v[20:21], off
	s_waitcnt vmcnt(0)
	v_subrev_u32_e32 v8, s5, v8
.LBB24_7:
	s_or_b64 exec, exec, s[0:1]
	v_min_i32_e32 v33, v8, v6
	v_mbcnt_lo_u32_b32 v6, -1, 0
	v_mbcnt_hi_u32_b32 v6, -1, v6
	v_and_b32_e32 v15, 0xe0, v0
	v_lshlrev_b32_e32 v21, 11, v1
	v_subrev_u32_e32 v22, s4, v7
	v_and_b32_e32 v1, 31, v0
	v_and_b32_e32 v7, 64, v6
	v_bitop3_b32 v0, v0, 31, v0 bitop3:0xc
	v_add_u32_e32 v7, 64, v7
	v_lshrrev_b32_e64 v26, v0, -1
	v_xor_b32_e32 v0, 16, v6
	v_subrev_u32_e32 v23, s5, v9
	v_cmp_lt_i32_e32 vcc, v0, v7
	v_xor_b32_e32 v9, 8, v6
	s_cmp_lg_u32 s8, 0
	v_cndmask_b32_e32 v0, v6, v0, vcc
	v_cmp_lt_i32_e32 vcc, v9, v7
	v_lshl_or_b32 v25, v1, 6, v21
	s_mov_b32 s0, 0
	v_cndmask_b32_e32 v9, v6, v9, vcc
	v_lshlrev_b32_e32 v30, 2, v9
	v_xor_b32_e32 v9, 4, v6
	v_cmp_lt_i32_e32 vcc, v9, v7
	s_cselect_b64 s[24:25], -1, 0
	s_cmp_eq_u32 s8, 0
	v_cndmask_b32_e32 v9, v6, v9, vcc
	v_lshlrev_b32_e32 v31, 2, v9
	v_xor_b32_e32 v9, 2, v6
	v_cmp_lt_i32_e32 vcc, v9, v7
	v_lshlrev_b32_e32 v28, 2, v0
	v_or_b32_e32 v0, 16, v25
	v_cndmask_b32_e32 v9, v6, v9, vcc
	v_lshlrev_b32_e32 v32, 2, v9
	v_xor_b32_e32 v9, 1, v6
	v_cmp_lt_i32_e32 vcc, v9, v7
	v_or_b32_e32 v8, 32, v25
	s_mov_b32 s2, s0
	v_cndmask_b32_e32 v6, v6, v9, vcc
	s_cselect_b64 vcc, -1, 0
	s_mov_b32 s3, s0
	v_or_b32_e32 v20, 0x4000, v15
	v_cndmask_b32_e32 v35, v8, v0, vcc
	v_cndmask_b32_e32 v36, v0, v8, vcc
	s_mov_b32 s1, s0
	v_mov_b64_e32 v[42:43], s[2:3]
	v_cndmask_b32_e64 v0, 0, 1, s[24:25]
	v_subrev_u32_e32 v24, s6, v18
	v_add_u32_e32 v14, v14, v1
	v_add_u32_e32 v16, v16, v1
	;; [unrolled: 1-line block ×3, first 2 shown]
	v_or_b32_e32 v29, 48, v25
	v_lshlrev_b32_e32 v34, 2, v6
	s_mov_b64 s[6:7], 0
	v_add_u32_e32 v37, v20, v1
	v_mov_b32_e32 v1, 0
	v_mov_b64_e32 v[40:41], s[0:1]
	v_mov_b32_e32 v38, 1
	v_cmp_ne_u32_e64 s[0:1], 1, v0
	s_branch .LBB24_9
.LBB24_8:                               ;   in Loop: Header=BB24_9 Depth=1
	s_or_b64 exec, exec, s[8:9]
	ds_bpermute_b32 v0, v28, v39
	s_bcnt1_i32_b64 s2, vcc
	v_add_u32_e32 v24, s2, v24
	s_waitcnt lgkmcnt(0)
	v_min_i32_e32 v0, v0, v39
	ds_bpermute_b32 v6, v30, v0
	s_waitcnt lgkmcnt(0)
	v_min_i32_e32 v0, v6, v0
	ds_bpermute_b32 v6, v31, v0
	;; [unrolled: 3-line block ×4, first 2 shown]
	s_waitcnt lgkmcnt(0)
	v_min_i32_e32 v33, v6, v0
	v_cmp_le_i32_e32 vcc, s10, v33
	s_or_b64 s[6:7], vcc, s[6:7]
	s_andn2_b64 exec, exec, s[6:7]
	s_cbranch_execz .LBB24_37
.LBB24_9:                               ; =>This Loop Header: Depth=1
                                        ;     Child Loop BB24_12 Depth 2
                                        ;     Child Loop BB24_25 Depth 2
	v_cmp_lt_i32_e32 vcc, v14, v22
	v_mov_b32_e32 v39, s10
	ds_write_b8 v37, v1
	ds_write_b128 v25, v[40:43]
	ds_write_b128 v25, v[40:43] offset:16
	ds_write_b128 v25, v[40:43] offset:32
	;; [unrolled: 1-line block ×3, first 2 shown]
	s_waitcnt lgkmcnt(0)
	s_and_saveexec_b64 s[8:9], vcc
	s_cbranch_execz .LBB24_22
; %bb.10:                               ;   in Loop: Header=BB24_9 Depth=1
	v_lshlrev_b32_e32 v0, 2, v14
	s_mov_b64 s[24:25], 0
	v_mov_b32_e32 v39, s10
	s_branch .LBB24_12
.LBB24_11:                              ;   in Loop: Header=BB24_12 Depth=2
	s_or_b64 exec, exec, s[28:29]
	s_and_b64 s[2:3], exec, s[26:27]
	s_or_b64 s[24:25], s[2:3], s[24:25]
	s_andn2_b64 exec, exec, s[24:25]
	s_cbranch_execz .LBB24_21
.LBB24_12:                              ;   Parent Loop BB24_9 Depth=1
                                        ; =>  This Inner Loop Header: Depth=2
	v_ashrrev_i32_e32 v15, 31, v14
	v_lshl_add_u64 v[6:7], v[14:15], 2, s[14:15]
	global_load_dword v6, v[6:7], off
	s_waitcnt vmcnt(0)
	v_subrev_u32_e32 v6, s4, v6
	v_sub_u32_e32 v8, v6, v33
	v_cmp_gt_u32_e64 s[2:3], 32, v8
	v_cmp_lt_u32_e32 vcc, 31, v8
	s_and_saveexec_b64 s[26:27], vcc
	s_xor_b64 s[26:27], exec, s[26:27]
; %bb.13:                               ;   in Loop: Header=BB24_12 Depth=2
	v_min_i32_e32 v39, v6, v39
                                        ; implicit-def: $vgpr8
; %bb.14:                               ;   in Loop: Header=BB24_12 Depth=2
	s_andn2_saveexec_b64 s[26:27], s[26:27]
	s_cbranch_execz .LBB24_19
; %bb.15:                               ;   in Loop: Header=BB24_12 Depth=2
	v_lshl_add_u64 v[6:7], v[0:1], 4, s[16:17]
	global_load_dwordx4 v[44:47], v[6:7], off
	v_add_u32_e32 v9, v20, v8
	v_lshlrev_b32_e32 v8, 6, v8
	s_and_b64 vcc, exec, s[0:1]
	v_add_u32_e32 v8, v21, v8
	s_mov_b64 s[28:29], -1
	ds_write_b8 v9, v38
	s_waitcnt vmcnt(0)
	v_mul_f64 v[48:49], v[46:47], -v[12:13]
	v_mul_f64 v[50:51], v[10:11], v[46:47]
	v_fmac_f64_e32 v[48:49], v[10:11], v[44:45]
	v_fmac_f64_e32 v[50:51], v[12:13], v[44:45]
	ds_write_b128 v8, v[48:51]
	s_cbranch_vccnz .LBB24_17
; %bb.16:                               ;   in Loop: Header=BB24_12 Depth=2
	global_load_dwordx4 v[44:47], v[6:7], off offset:32
	global_load_dwordx4 v[48:51], v[6:7], off offset:16
	;; [unrolled: 1-line block ×3, first 2 shown]
	s_mov_b64 s[28:29], 0
	s_waitcnt vmcnt(2)
	v_mul_f64 v[56:57], v[46:47], -v[12:13]
	v_mul_f64 v[58:59], v[10:11], v[46:47]
	s_waitcnt vmcnt(1)
	v_mul_f64 v[60:61], v[50:51], -v[12:13]
	v_mul_f64 v[62:63], v[10:11], v[50:51]
	;; [unrolled: 3-line block ×3, first 2 shown]
	v_fmac_f64_e32 v[56:57], v[10:11], v[44:45]
	v_fmac_f64_e32 v[58:59], v[12:13], v[44:45]
	;; [unrolled: 1-line block ×6, first 2 shown]
	ds_write_b128 v8, v[56:59] offset:16
	ds_write_b128 v8, v[60:63] offset:32
	;; [unrolled: 1-line block ×3, first 2 shown]
.LBB24_17:                              ;   in Loop: Header=BB24_12 Depth=2
	s_andn2_b64 vcc, exec, s[28:29]
	s_cbranch_vccnz .LBB24_19
; %bb.18:                               ;   in Loop: Header=BB24_12 Depth=2
	global_load_dwordx4 v[44:47], v[6:7], off offset:16
	global_load_dwordx4 v[48:51], v[6:7], off offset:32
	;; [unrolled: 1-line block ×3, first 2 shown]
	s_waitcnt vmcnt(2)
	v_mul_f64 v[56:57], v[46:47], -v[12:13]
	v_mul_f64 v[58:59], v[10:11], v[46:47]
	s_waitcnt vmcnt(1)
	v_mul_f64 v[60:61], v[50:51], -v[12:13]
	v_mul_f64 v[62:63], v[10:11], v[50:51]
	;; [unrolled: 3-line block ×3, first 2 shown]
	v_fmac_f64_e32 v[56:57], v[10:11], v[44:45]
	v_fmac_f64_e32 v[58:59], v[12:13], v[44:45]
	;; [unrolled: 1-line block ×6, first 2 shown]
	ds_write_b128 v8, v[56:59] offset:16
	ds_write_b128 v8, v[60:63] offset:32
	;; [unrolled: 1-line block ×3, first 2 shown]
.LBB24_19:                              ;   in Loop: Header=BB24_12 Depth=2
	s_or_b64 exec, exec, s[26:27]
	s_mov_b64 s[26:27], -1
	s_and_saveexec_b64 s[28:29], s[2:3]
	s_cbranch_execz .LBB24_11
; %bb.20:                               ;   in Loop: Header=BB24_12 Depth=2
	v_add_u32_e32 v14, 32, v14
	v_cmp_ge_i32_e32 vcc, v14, v22
	v_add_u32_e32 v0, 0x80, v0
	s_orn2_b64 s[26:27], vcc, exec
	s_branch .LBB24_11
.LBB24_21:                              ;   in Loop: Header=BB24_9 Depth=1
	s_or_b64 exec, exec, s[24:25]
.LBB24_22:                              ;   in Loop: Header=BB24_9 Depth=1
	s_or_b64 exec, exec, s[8:9]
	v_cmp_lt_i32_e32 vcc, v16, v23
	s_waitcnt lgkmcnt(0)
	s_and_saveexec_b64 s[8:9], vcc
	s_cbranch_execz .LBB24_35
; %bb.23:                               ;   in Loop: Header=BB24_9 Depth=1
	v_lshlrev_b32_e32 v0, 2, v16
	s_mov_b64 s[24:25], 0
	s_branch .LBB24_25
.LBB24_24:                              ;   in Loop: Header=BB24_25 Depth=2
	s_or_b64 exec, exec, s[28:29]
	s_and_b64 s[2:3], exec, s[26:27]
	s_or_b64 s[24:25], s[2:3], s[24:25]
	s_andn2_b64 exec, exec, s[24:25]
	s_cbranch_execz .LBB24_34
.LBB24_25:                              ;   Parent Loop BB24_9 Depth=1
                                        ; =>  This Inner Loop Header: Depth=2
	v_ashrrev_i32_e32 v17, 31, v16
	s_waitcnt lgkmcnt(1)
	v_lshl_add_u64 v[6:7], v[16:17], 2, s[18:19]
	global_load_dword v6, v[6:7], off
	s_waitcnt vmcnt(0)
	v_subrev_u32_e32 v7, s5, v6
	v_sub_u32_e32 v6, v7, v33
	v_cmp_gt_u32_e64 s[2:3], 32, v6
	v_cmp_lt_u32_e32 vcc, 31, v6
	s_and_saveexec_b64 s[26:27], vcc
	s_xor_b64 s[26:27], exec, s[26:27]
; %bb.26:                               ;   in Loop: Header=BB24_25 Depth=2
	v_min_i32_e32 v39, v7, v39
                                        ; implicit-def: $vgpr6
; %bb.27:                               ;   in Loop: Header=BB24_25 Depth=2
	s_andn2_saveexec_b64 s[26:27], s[26:27]
	s_cbranch_execz .LBB24_32
; %bb.28:                               ;   in Loop: Header=BB24_25 Depth=2
	v_lshl_add_u64 v[18:19], v[0:1], 4, s[12:13]
	global_load_dwordx4 v[44:47], v[18:19], off
	v_lshlrev_b32_e32 v7, 6, v6
	v_add_u32_e32 v15, v21, v7
	ds_read_b128 v[48:51], v15
	v_add_u32_e32 v6, v20, v6
	ds_write_b8 v6, v38
	ds_read_b128 v[6:9], v15 offset:16
	s_and_b64 vcc, exec, s[0:1]
	s_mov_b64 s[28:29], -1
	s_waitcnt vmcnt(0) lgkmcnt(2)
	v_fmac_f64_e32 v[48:49], v[2:3], v[44:45]
	v_fmac_f64_e32 v[50:51], v[4:5], v[44:45]
	v_fma_f64 v[48:49], -v[4:5], v[46:47], v[48:49]
	v_fmac_f64_e32 v[50:51], v[2:3], v[46:47]
	ds_write_b128 v15, v[48:51]
	s_cbranch_vccnz .LBB24_30
; %bb.29:                               ;   in Loop: Header=BB24_25 Depth=2
	global_load_dwordx4 v[44:47], v[18:19], off offset:32
	global_load_dwordx4 v[48:51], v[18:19], off offset:16
	;; [unrolled: 1-line block ×3, first 2 shown]
	ds_read_b128 v[56:59], v15 offset:32
	ds_read_b128 v[60:63], v15 offset:48
	s_mov_b64 s[28:29], 0
	s_waitcnt vmcnt(2) lgkmcnt(3)
	v_fma_f64 v[64:65], v[2:3], v[44:45], v[6:7]
	v_fma_f64 v[66:67], v[4:5], v[44:45], v[8:9]
	s_waitcnt vmcnt(1) lgkmcnt(1)
	v_fmac_f64_e32 v[56:57], v[2:3], v[48:49]
	v_fmac_f64_e32 v[58:59], v[4:5], v[48:49]
	s_waitcnt vmcnt(0) lgkmcnt(0)
	v_fmac_f64_e32 v[60:61], v[2:3], v[52:53]
	v_fmac_f64_e32 v[62:63], v[4:5], v[52:53]
	v_fma_f64 v[64:65], -v[4:5], v[46:47], v[64:65]
	v_fmac_f64_e32 v[66:67], v[2:3], v[46:47]
	v_fma_f64 v[56:57], -v[4:5], v[50:51], v[56:57]
	v_fmac_f64_e32 v[58:59], v[2:3], v[50:51]
	v_fma_f64 v[60:61], -v[4:5], v[54:55], v[60:61]
	v_fmac_f64_e32 v[62:63], v[2:3], v[54:55]
	ds_write_b128 v15, v[64:67] offset:16
	ds_write_b128 v15, v[56:59] offset:32
	;; [unrolled: 1-line block ×3, first 2 shown]
.LBB24_30:                              ;   in Loop: Header=BB24_25 Depth=2
	s_andn2_b64 vcc, exec, s[28:29]
	s_cbranch_vccnz .LBB24_32
; %bb.31:                               ;   in Loop: Header=BB24_25 Depth=2
	global_load_dwordx4 v[44:47], v[18:19], off offset:16
	global_load_dwordx4 v[48:51], v[18:19], off offset:32
	;; [unrolled: 1-line block ×3, first 2 shown]
	ds_read_b128 v[56:59], v15 offset:32
	ds_read_b128 v[60:63], v15 offset:48
	s_waitcnt vmcnt(2) lgkmcnt(3)
	v_fmac_f64_e32 v[6:7], v[2:3], v[44:45]
	v_fmac_f64_e32 v[8:9], v[4:5], v[44:45]
	s_waitcnt vmcnt(1) lgkmcnt(1)
	v_fmac_f64_e32 v[56:57], v[2:3], v[48:49]
	v_fmac_f64_e32 v[58:59], v[4:5], v[48:49]
	;; [unrolled: 3-line block ×3, first 2 shown]
	v_fma_f64 v[6:7], -v[4:5], v[46:47], v[6:7]
	v_fmac_f64_e32 v[8:9], v[2:3], v[46:47]
	v_fma_f64 v[56:57], -v[4:5], v[50:51], v[56:57]
	v_fmac_f64_e32 v[58:59], v[2:3], v[50:51]
	;; [unrolled: 2-line block ×3, first 2 shown]
	ds_write_b128 v15, v[6:9] offset:16
	ds_write_b128 v15, v[56:59] offset:32
	;; [unrolled: 1-line block ×3, first 2 shown]
.LBB24_32:                              ;   in Loop: Header=BB24_25 Depth=2
	s_or_b64 exec, exec, s[26:27]
	s_mov_b64 s[26:27], -1
	s_and_saveexec_b64 s[28:29], s[2:3]
	s_cbranch_execz .LBB24_24
; %bb.33:                               ;   in Loop: Header=BB24_25 Depth=2
	v_add_u32_e32 v16, 32, v16
	v_cmp_ge_i32_e32 vcc, v16, v23
	v_add_u32_e32 v0, 0x80, v0
	s_orn2_b64 s[26:27], vcc, exec
	s_branch .LBB24_24
.LBB24_34:                              ;   in Loop: Header=BB24_9 Depth=1
	s_or_b64 exec, exec, s[24:25]
.LBB24_35:                              ;   in Loop: Header=BB24_9 Depth=1
	s_or_b64 exec, exec, s[8:9]
	s_waitcnt lgkmcnt(0)
	ds_read_u8 v0, v37
	s_waitcnt lgkmcnt(0)
	v_and_b32_e32 v6, 1, v0
	v_cmp_eq_u32_e64 s[2:3], 1, v6
	v_cmp_ne_u16_e32 vcc, 0, v0
	s_and_saveexec_b64 s[8:9], s[2:3]
	s_cbranch_execz .LBB24_8
; %bb.36:                               ;   in Loop: Header=BB24_9 Depth=1
	v_and_b32_e32 v0, vcc_lo, v26
	v_bcnt_u32_b32 v0, v0, 0
	v_add3_u32 v6, v24, v0, -1
	v_ashrrev_i32_e32 v7, 31, v6
	v_add_u32_e32 v15, v27, v33
	v_lshl_add_u64 v[8:9], v[6:7], 2, s[20:21]
	global_store_dword v[8:9], v15, off
	v_lshlrev_b32_e32 v0, 2, v6
	ds_read2_b64 v[6:9], v25 offset1:1
	ds_read2_b64 v[44:47], v35 offset1:1
	;; [unrolled: 1-line block ×4, first 2 shown]
	v_lshl_add_u64 v[18:19], v[0:1], 4, s[22:23]
	s_waitcnt lgkmcnt(3)
	global_store_dwordx4 v[18:19], v[6:9], off
	s_waitcnt lgkmcnt(2)
	global_store_dwordx4 v[18:19], v[44:47], off offset:16
	s_waitcnt lgkmcnt(1)
	global_store_dwordx4 v[18:19], v[48:51], off offset:32
	;; [unrolled: 2-line block ×3, first 2 shown]
	s_branch .LBB24_8
.LBB24_37:
	s_endpgm
	.section	.rodata,"a",@progbits
	.p2align	6, 0x0
	.amdhsa_kernel _ZN9rocsparseL39bsrgeam_wf_per_row_multipass_2_3_kernelILj256ELj2ELj32E21rocsparse_complex_numIdEEEv20rocsparse_direction_iiiNS_24const_host_device_scalarIT2_EEPKiS8_PKS5_S6_S8_S8_SA_S8_PiPS5_21rocsparse_index_base_SD_SD_b
		.amdhsa_group_segment_fixed_size 16640
		.amdhsa_private_segment_fixed_size 16
		.amdhsa_kernarg_size 136
		.amdhsa_user_sgpr_count 2
		.amdhsa_user_sgpr_dispatch_ptr 0
		.amdhsa_user_sgpr_queue_ptr 0
		.amdhsa_user_sgpr_kernarg_segment_ptr 1
		.amdhsa_user_sgpr_dispatch_id 0
		.amdhsa_user_sgpr_kernarg_preload_length 0
		.amdhsa_user_sgpr_kernarg_preload_offset 0
		.amdhsa_user_sgpr_private_segment_size 0
		.amdhsa_uses_dynamic_stack 0
		.amdhsa_enable_private_segment 1
		.amdhsa_system_sgpr_workgroup_id_x 1
		.amdhsa_system_sgpr_workgroup_id_y 0
		.amdhsa_system_sgpr_workgroup_id_z 0
		.amdhsa_system_sgpr_workgroup_info 0
		.amdhsa_system_vgpr_workitem_id 0
		.amdhsa_next_free_vgpr 68
		.amdhsa_next_free_sgpr 30
		.amdhsa_accum_offset 68
		.amdhsa_reserve_vcc 1
		.amdhsa_float_round_mode_32 0
		.amdhsa_float_round_mode_16_64 0
		.amdhsa_float_denorm_mode_32 3
		.amdhsa_float_denorm_mode_16_64 3
		.amdhsa_dx10_clamp 1
		.amdhsa_ieee_mode 1
		.amdhsa_fp16_overflow 0
		.amdhsa_tg_split 0
		.amdhsa_exception_fp_ieee_invalid_op 0
		.amdhsa_exception_fp_denorm_src 0
		.amdhsa_exception_fp_ieee_div_zero 0
		.amdhsa_exception_fp_ieee_overflow 0
		.amdhsa_exception_fp_ieee_underflow 0
		.amdhsa_exception_fp_ieee_inexact 0
		.amdhsa_exception_int_div_zero 0
	.end_amdhsa_kernel
	.section	.text._ZN9rocsparseL39bsrgeam_wf_per_row_multipass_2_3_kernelILj256ELj2ELj32E21rocsparse_complex_numIdEEEv20rocsparse_direction_iiiNS_24const_host_device_scalarIT2_EEPKiS8_PKS5_S6_S8_S8_SA_S8_PiPS5_21rocsparse_index_base_SD_SD_b,"axG",@progbits,_ZN9rocsparseL39bsrgeam_wf_per_row_multipass_2_3_kernelILj256ELj2ELj32E21rocsparse_complex_numIdEEEv20rocsparse_direction_iiiNS_24const_host_device_scalarIT2_EEPKiS8_PKS5_S6_S8_S8_SA_S8_PiPS5_21rocsparse_index_base_SD_SD_b,comdat
.Lfunc_end24:
	.size	_ZN9rocsparseL39bsrgeam_wf_per_row_multipass_2_3_kernelILj256ELj2ELj32E21rocsparse_complex_numIdEEEv20rocsparse_direction_iiiNS_24const_host_device_scalarIT2_EEPKiS8_PKS5_S6_S8_S8_SA_S8_PiPS5_21rocsparse_index_base_SD_SD_b, .Lfunc_end24-_ZN9rocsparseL39bsrgeam_wf_per_row_multipass_2_3_kernelILj256ELj2ELj32E21rocsparse_complex_numIdEEEv20rocsparse_direction_iiiNS_24const_host_device_scalarIT2_EEPKiS8_PKS5_S6_S8_S8_SA_S8_PiPS5_21rocsparse_index_base_SD_SD_b
                                        ; -- End function
	.set _ZN9rocsparseL39bsrgeam_wf_per_row_multipass_2_3_kernelILj256ELj2ELj32E21rocsparse_complex_numIdEEEv20rocsparse_direction_iiiNS_24const_host_device_scalarIT2_EEPKiS8_PKS5_S6_S8_S8_SA_S8_PiPS5_21rocsparse_index_base_SD_SD_b.num_vgpr, 68
	.set _ZN9rocsparseL39bsrgeam_wf_per_row_multipass_2_3_kernelILj256ELj2ELj32E21rocsparse_complex_numIdEEEv20rocsparse_direction_iiiNS_24const_host_device_scalarIT2_EEPKiS8_PKS5_S6_S8_S8_SA_S8_PiPS5_21rocsparse_index_base_SD_SD_b.num_agpr, 0
	.set _ZN9rocsparseL39bsrgeam_wf_per_row_multipass_2_3_kernelILj256ELj2ELj32E21rocsparse_complex_numIdEEEv20rocsparse_direction_iiiNS_24const_host_device_scalarIT2_EEPKiS8_PKS5_S6_S8_S8_SA_S8_PiPS5_21rocsparse_index_base_SD_SD_b.numbered_sgpr, 30
	.set _ZN9rocsparseL39bsrgeam_wf_per_row_multipass_2_3_kernelILj256ELj2ELj32E21rocsparse_complex_numIdEEEv20rocsparse_direction_iiiNS_24const_host_device_scalarIT2_EEPKiS8_PKS5_S6_S8_S8_SA_S8_PiPS5_21rocsparse_index_base_SD_SD_b.num_named_barrier, 0
	.set _ZN9rocsparseL39bsrgeam_wf_per_row_multipass_2_3_kernelILj256ELj2ELj32E21rocsparse_complex_numIdEEEv20rocsparse_direction_iiiNS_24const_host_device_scalarIT2_EEPKiS8_PKS5_S6_S8_S8_SA_S8_PiPS5_21rocsparse_index_base_SD_SD_b.private_seg_size, 16
	.set _ZN9rocsparseL39bsrgeam_wf_per_row_multipass_2_3_kernelILj256ELj2ELj32E21rocsparse_complex_numIdEEEv20rocsparse_direction_iiiNS_24const_host_device_scalarIT2_EEPKiS8_PKS5_S6_S8_S8_SA_S8_PiPS5_21rocsparse_index_base_SD_SD_b.uses_vcc, 1
	.set _ZN9rocsparseL39bsrgeam_wf_per_row_multipass_2_3_kernelILj256ELj2ELj32E21rocsparse_complex_numIdEEEv20rocsparse_direction_iiiNS_24const_host_device_scalarIT2_EEPKiS8_PKS5_S6_S8_S8_SA_S8_PiPS5_21rocsparse_index_base_SD_SD_b.uses_flat_scratch, 0
	.set _ZN9rocsparseL39bsrgeam_wf_per_row_multipass_2_3_kernelILj256ELj2ELj32E21rocsparse_complex_numIdEEEv20rocsparse_direction_iiiNS_24const_host_device_scalarIT2_EEPKiS8_PKS5_S6_S8_S8_SA_S8_PiPS5_21rocsparse_index_base_SD_SD_b.has_dyn_sized_stack, 0
	.set _ZN9rocsparseL39bsrgeam_wf_per_row_multipass_2_3_kernelILj256ELj2ELj32E21rocsparse_complex_numIdEEEv20rocsparse_direction_iiiNS_24const_host_device_scalarIT2_EEPKiS8_PKS5_S6_S8_S8_SA_S8_PiPS5_21rocsparse_index_base_SD_SD_b.has_recursion, 0
	.set _ZN9rocsparseL39bsrgeam_wf_per_row_multipass_2_3_kernelILj256ELj2ELj32E21rocsparse_complex_numIdEEEv20rocsparse_direction_iiiNS_24const_host_device_scalarIT2_EEPKiS8_PKS5_S6_S8_S8_SA_S8_PiPS5_21rocsparse_index_base_SD_SD_b.has_indirect_call, 0
	.section	.AMDGPU.csdata,"",@progbits
; Kernel info:
; codeLenInByte = 2056
; TotalNumSgprs: 36
; NumVgprs: 68
; NumAgprs: 0
; TotalNumVgprs: 68
; ScratchSize: 16
; MemoryBound: 0
; FloatMode: 240
; IeeeMode: 1
; LDSByteSize: 16640 bytes/workgroup (compile time only)
; SGPRBlocks: 4
; VGPRBlocks: 8
; NumSGPRsForWavesPerEU: 36
; NumVGPRsForWavesPerEU: 68
; AccumOffset: 68
; Occupancy: 7
; WaveLimiterHint : 1
; COMPUTE_PGM_RSRC2:SCRATCH_EN: 1
; COMPUTE_PGM_RSRC2:USER_SGPR: 2
; COMPUTE_PGM_RSRC2:TRAP_HANDLER: 0
; COMPUTE_PGM_RSRC2:TGID_X_EN: 1
; COMPUTE_PGM_RSRC2:TGID_Y_EN: 0
; COMPUTE_PGM_RSRC2:TGID_Z_EN: 0
; COMPUTE_PGM_RSRC2:TIDIG_COMP_CNT: 0
; COMPUTE_PGM_RSRC3_GFX90A:ACCUM_OFFSET: 16
; COMPUTE_PGM_RSRC3_GFX90A:TG_SPLIT: 0
	.section	.text._ZN9rocsparseL39bsrgeam_wf_per_row_multipass_2_3_kernelILj256ELj2ELj64E21rocsparse_complex_numIdEEEv20rocsparse_direction_iiiNS_24const_host_device_scalarIT2_EEPKiS8_PKS5_S6_S8_S8_SA_S8_PiPS5_21rocsparse_index_base_SD_SD_b,"axG",@progbits,_ZN9rocsparseL39bsrgeam_wf_per_row_multipass_2_3_kernelILj256ELj2ELj64E21rocsparse_complex_numIdEEEv20rocsparse_direction_iiiNS_24const_host_device_scalarIT2_EEPKiS8_PKS5_S6_S8_S8_SA_S8_PiPS5_21rocsparse_index_base_SD_SD_b,comdat
	.globl	_ZN9rocsparseL39bsrgeam_wf_per_row_multipass_2_3_kernelILj256ELj2ELj64E21rocsparse_complex_numIdEEEv20rocsparse_direction_iiiNS_24const_host_device_scalarIT2_EEPKiS8_PKS5_S6_S8_S8_SA_S8_PiPS5_21rocsparse_index_base_SD_SD_b ; -- Begin function _ZN9rocsparseL39bsrgeam_wf_per_row_multipass_2_3_kernelILj256ELj2ELj64E21rocsparse_complex_numIdEEEv20rocsparse_direction_iiiNS_24const_host_device_scalarIT2_EEPKiS8_PKS5_S6_S8_S8_SA_S8_PiPS5_21rocsparse_index_base_SD_SD_b
	.p2align	8
	.type	_ZN9rocsparseL39bsrgeam_wf_per_row_multipass_2_3_kernelILj256ELj2ELj64E21rocsparse_complex_numIdEEEv20rocsparse_direction_iiiNS_24const_host_device_scalarIT2_EEPKiS8_PKS5_S6_S8_S8_SA_S8_PiPS5_21rocsparse_index_base_SD_SD_b,@function
_ZN9rocsparseL39bsrgeam_wf_per_row_multipass_2_3_kernelILj256ELj2ELj64E21rocsparse_complex_numIdEEEv20rocsparse_direction_iiiNS_24const_host_device_scalarIT2_EEPKiS8_PKS5_S6_S8_S8_SA_S8_PiPS5_21rocsparse_index_base_SD_SD_b: ; @_ZN9rocsparseL39bsrgeam_wf_per_row_multipass_2_3_kernelILj256ELj2ELj64E21rocsparse_complex_numIdEEEv20rocsparse_direction_iiiNS_24const_host_device_scalarIT2_EEPKiS8_PKS5_S6_S8_S8_SA_S8_PiPS5_21rocsparse_index_base_SD_SD_b
; %bb.0:
	s_load_dwordx4 s[4:7], s[0:1], 0x78
	s_load_dwordx4 s[8:11], s[0:1], 0x10
	s_mov_b64 s[12:13], src_private_base
	s_waitcnt lgkmcnt(0)
	s_bitcmp1_b32 s7, 0
	s_cselect_b64 s[20:21], -1, 0
	s_and_b64 vcc, s[20:21], exec
	v_mov_b64_e32 v[2:3], s[8:9]
	s_cselect_b32 s3, s13, s9
	s_cselect_b32 s7, 0, s8
	scratch_store_dwordx2 off, v[2:3], off
	v_mov_b32_e32 v2, s7
	v_mov_b32_e32 v3, s3
	flat_load_dwordx2 v[10:11], v[2:3]
	v_mov_b64_e32 v[12:13], s[10:11]
	s_cbranch_vccnz .LBB25_2
; %bb.1:
	v_mov_b64_e32 v[2:3], s[8:9]
	flat_load_dwordx2 v[12:13], v[2:3] offset:8
.LBB25_2:
	s_load_dwordx4 s[8:11], s[0:1], 0x0
	s_lshl_b32 s2, s2, 2
	v_lshrrev_b32_e32 v1, 6, v0
	s_and_b32 s2, s2, 0x3fffffc
	v_or_b32_e32 v2, s2, v1
	s_waitcnt lgkmcnt(0)
	v_cmp_gt_i32_e32 vcc, s9, v2
	s_and_saveexec_b64 s[2:3], vcc
	s_cbranch_execz .LBB25_37
; %bb.3:
	s_load_dwordx4 s[12:15], s[0:1], 0x20
	s_load_dwordx2 s[2:3], s[0:1], 0x38
	s_load_dwordx2 s[22:23], s[0:1], 0x60
	s_load_dwordx4 s[16:19], s[0:1], 0x48
	s_add_u32 s7, s0, 56
	s_addc_u32 s9, s1, 0
	s_and_b64 s[20:21], s[20:21], exec
	s_waitcnt lgkmcnt(0)
	s_cselect_b32 s3, s9, s3
	s_cselect_b32 s2, s7, s2
	v_lshlrev_b32_e32 v16, 2, v2
	v_mov_b32_e32 v14, s2
	v_mov_b32_e32 v15, s3
	global_load_dwordx2 v[6:7], v16, s[12:13]
	global_load_dwordx2 v[8:9], v16, s[16:17]
	global_load_dword v18, v16, s[22:23]
	flat_load_dwordx4 v[2:5], v[14:15]
	s_waitcnt vmcnt(0)
	v_subrev_u32_e32 v14, s4, v6
	v_cmp_lt_i32_e32 vcc, v6, v7
	v_mov_b32_e32 v6, s10
	s_and_saveexec_b64 s[2:3], vcc
	s_cbranch_execz .LBB25_5
; %bb.4:
	v_ashrrev_i32_e32 v15, 31, v14
	v_lshl_add_u64 v[16:17], v[14:15], 2, s[14:15]
	global_load_dword v6, v[16:17], off
	s_waitcnt vmcnt(0)
	v_subrev_u32_e32 v6, s4, v6
.LBB25_5:
	s_or_b64 exec, exec, s[2:3]
	s_load_dwordx4 s[20:23], s[0:1], 0x68
	s_load_dwordx2 s[12:13], s[0:1], 0x58
	s_load_dwordx2 s[16:17], s[0:1], 0x30
	v_subrev_u32_e32 v16, s5, v8
	v_cmp_lt_i32_e32 vcc, v8, v9
	v_mov_b32_e32 v8, s10
	s_and_saveexec_b64 s[0:1], vcc
	s_cbranch_execz .LBB25_7
; %bb.6:
	v_ashrrev_i32_e32 v17, 31, v16
	v_lshl_add_u64 v[20:21], v[16:17], 2, s[18:19]
	global_load_dword v8, v[20:21], off
	s_waitcnt vmcnt(0)
	v_subrev_u32_e32 v8, s5, v8
.LBB25_7:
	s_or_b64 exec, exec, s[0:1]
	v_lshlrev_b32_e32 v23, 12, v1
	v_mbcnt_lo_u32_b32 v1, -1, 0
	v_min_i32_e32 v35, v8, v6
	v_mbcnt_hi_u32_b32 v6, -1, v1
	v_and_b32_e32 v1, 64, v6
	v_subrev_u32_e32 v25, s5, v9
	v_add_u32_e32 v8, 64, v1
	v_xor_b32_e32 v9, 32, v6
	v_cmp_lt_i32_e32 vcc, v9, v8
	v_xor_b32_e32 v17, 16, v6
	v_subrev_u32_e32 v24, s4, v7
	v_cndmask_b32_e32 v9, v6, v9, vcc
	v_cmp_lt_i32_e32 vcc, v17, v8
	v_and_b32_e32 v7, 63, v0
	s_mov_b32 s0, 0
	v_cndmask_b32_e32 v17, v6, v17, vcc
	v_lshlrev_b32_e32 v31, 2, v17
	v_xor_b32_e32 v17, 8, v6
	v_cmp_lt_i32_e32 vcc, v17, v8
	s_cmp_lg_u32 s8, 0
	v_and_b32_e32 v15, 0xc0, v0
	v_cndmask_b32_e32 v17, v6, v17, vcc
	v_lshlrev_b32_e32 v32, 2, v17
	v_xor_b32_e32 v17, 4, v6
	v_cmp_lt_i32_e32 vcc, v17, v8
	v_lshl_or_b32 v27, v7, 6, v23
	s_cselect_b64 s[24:25], -1, 0
	v_cndmask_b32_e32 v17, v6, v17, vcc
	v_lshlrev_b32_e32 v33, 2, v17
	v_xor_b32_e32 v17, 2, v6
	v_cmp_lt_i32_e32 vcc, v17, v8
	s_cmp_eq_u32 s8, 0
	s_mov_b32 s2, s0
	v_cndmask_b32_e32 v17, v6, v17, vcc
	v_lshlrev_b32_e32 v34, 2, v17
	v_xor_b32_e32 v17, 1, v6
	v_cmp_lt_i32_e32 vcc, v17, v8
	s_mov_b32 s3, s0
	v_or_b32_e32 v22, 0x4000, v15
	v_cndmask_b32_e32 v6, v6, v17, vcc
	v_bitop3_b32 v0, v0, 63, v0 bitop3:0xc
	v_lshlrev_b32_e32 v29, 2, v9
	v_or_b32_e32 v9, 16, v27
	v_or_b32_e32 v15, 32, v27
	v_lshlrev_b32_e32 v36, 2, v6
	s_cselect_b64 vcc, -1, 0
	s_mov_b32 s1, s0
	v_mov_b64_e32 v[44:45], s[2:3]
	v_cndmask_b32_e64 v6, 0, 1, s[24:25]
	v_subrev_u32_e32 v26, s6, v18
	v_add_u32_e32 v14, v14, v7
	v_add_u32_e32 v16, v16, v7
	v_lshrrev_b64 v[0:1], v0, -1
	v_add_u32_e32 v28, s6, v7
	v_or_b32_e32 v30, 48, v27
	v_cndmask_b32_e32 v37, v15, v9, vcc
	v_cndmask_b32_e32 v38, v9, v15, vcc
	s_mov_b64 s[6:7], 0
	v_add_u32_e32 v39, v22, v7
	v_mov_b32_e32 v19, 0
	v_mov_b64_e32 v[42:43], s[0:1]
	v_mov_b32_e32 v40, 1
	v_cmp_ne_u32_e64 s[0:1], 1, v6
	s_branch .LBB25_9
.LBB25_8:                               ;   in Loop: Header=BB25_9 Depth=1
	s_or_b64 exec, exec, s[8:9]
	ds_bpermute_b32 v6, v29, v41
	s_bcnt1_i32_b64 s2, vcc
	v_add_u32_e32 v26, s2, v26
	s_waitcnt lgkmcnt(0)
	v_min_i32_e32 v6, v6, v41
	ds_bpermute_b32 v7, v31, v6
	s_waitcnt lgkmcnt(0)
	v_min_i32_e32 v6, v7, v6
	ds_bpermute_b32 v7, v32, v6
	;; [unrolled: 3-line block ×5, first 2 shown]
	s_waitcnt lgkmcnt(0)
	v_min_i32_e32 v35, v7, v6
	v_cmp_le_i32_e32 vcc, s10, v35
	s_or_b64 s[6:7], vcc, s[6:7]
	s_andn2_b64 exec, exec, s[6:7]
	s_cbranch_execz .LBB25_37
.LBB25_9:                               ; =>This Loop Header: Depth=1
                                        ;     Child Loop BB25_12 Depth 2
                                        ;     Child Loop BB25_25 Depth 2
	v_cmp_lt_i32_e32 vcc, v14, v24
	v_mov_b32_e32 v41, s10
	ds_write_b8 v39, v19
	ds_write_b128 v27, v[42:45]
	ds_write_b128 v27, v[42:45] offset:16
	ds_write_b128 v27, v[42:45] offset:32
	;; [unrolled: 1-line block ×3, first 2 shown]
	s_waitcnt lgkmcnt(0)
	s_and_saveexec_b64 s[8:9], vcc
	s_cbranch_execz .LBB25_22
; %bb.10:                               ;   in Loop: Header=BB25_9 Depth=1
	v_lshlrev_b32_e32 v18, 2, v14
	s_mov_b64 s[24:25], 0
	v_mov_b32_e32 v41, s10
	s_branch .LBB25_12
.LBB25_11:                              ;   in Loop: Header=BB25_12 Depth=2
	s_or_b64 exec, exec, s[28:29]
	s_and_b64 s[2:3], exec, s[26:27]
	s_or_b64 s[24:25], s[2:3], s[24:25]
	s_andn2_b64 exec, exec, s[24:25]
	s_cbranch_execz .LBB25_21
.LBB25_12:                              ;   Parent Loop BB25_9 Depth=1
                                        ; =>  This Inner Loop Header: Depth=2
	v_ashrrev_i32_e32 v15, 31, v14
	v_lshl_add_u64 v[6:7], v[14:15], 2, s[14:15]
	global_load_dword v6, v[6:7], off
	s_waitcnt vmcnt(0)
	v_subrev_u32_e32 v6, s4, v6
	v_sub_u32_e32 v8, v6, v35
	v_cmp_gt_u32_e64 s[2:3], 64, v8
	v_cmp_lt_u32_e32 vcc, 63, v8
	s_and_saveexec_b64 s[26:27], vcc
	s_xor_b64 s[26:27], exec, s[26:27]
; %bb.13:                               ;   in Loop: Header=BB25_12 Depth=2
	v_min_i32_e32 v41, v6, v41
                                        ; implicit-def: $vgpr8
; %bb.14:                               ;   in Loop: Header=BB25_12 Depth=2
	s_andn2_saveexec_b64 s[26:27], s[26:27]
	s_cbranch_execz .LBB25_19
; %bb.15:                               ;   in Loop: Header=BB25_12 Depth=2
	v_lshl_add_u64 v[6:7], v[18:19], 4, s[16:17]
	global_load_dwordx4 v[46:49], v[6:7], off
	v_add_u32_e32 v9, v22, v8
	v_lshlrev_b32_e32 v8, 6, v8
	s_and_b64 vcc, exec, s[0:1]
	v_add_u32_e32 v8, v23, v8
	s_mov_b64 s[28:29], -1
	ds_write_b8 v9, v40
	s_waitcnt vmcnt(0)
	v_mul_f64 v[50:51], v[48:49], -v[12:13]
	v_mul_f64 v[52:53], v[10:11], v[48:49]
	v_fmac_f64_e32 v[50:51], v[10:11], v[46:47]
	v_fmac_f64_e32 v[52:53], v[12:13], v[46:47]
	ds_write_b128 v8, v[50:53]
	s_cbranch_vccnz .LBB25_17
; %bb.16:                               ;   in Loop: Header=BB25_12 Depth=2
	global_load_dwordx4 v[46:49], v[6:7], off offset:32
	global_load_dwordx4 v[50:53], v[6:7], off offset:16
	global_load_dwordx4 v[54:57], v[6:7], off offset:48
	s_mov_b64 s[28:29], 0
	s_waitcnt vmcnt(2)
	v_mul_f64 v[58:59], v[48:49], -v[12:13]
	v_mul_f64 v[60:61], v[10:11], v[48:49]
	s_waitcnt vmcnt(1)
	v_mul_f64 v[62:63], v[52:53], -v[12:13]
	v_mul_f64 v[64:65], v[10:11], v[52:53]
	;; [unrolled: 3-line block ×3, first 2 shown]
	v_fmac_f64_e32 v[58:59], v[10:11], v[46:47]
	v_fmac_f64_e32 v[60:61], v[12:13], v[46:47]
	;; [unrolled: 1-line block ×6, first 2 shown]
	ds_write_b128 v8, v[58:61] offset:16
	ds_write_b128 v8, v[62:65] offset:32
	;; [unrolled: 1-line block ×3, first 2 shown]
.LBB25_17:                              ;   in Loop: Header=BB25_12 Depth=2
	s_andn2_b64 vcc, exec, s[28:29]
	s_cbranch_vccnz .LBB25_19
; %bb.18:                               ;   in Loop: Header=BB25_12 Depth=2
	global_load_dwordx4 v[46:49], v[6:7], off offset:16
	global_load_dwordx4 v[50:53], v[6:7], off offset:32
	;; [unrolled: 1-line block ×3, first 2 shown]
	s_waitcnt vmcnt(2)
	v_mul_f64 v[58:59], v[48:49], -v[12:13]
	v_mul_f64 v[60:61], v[10:11], v[48:49]
	s_waitcnt vmcnt(1)
	v_mul_f64 v[62:63], v[52:53], -v[12:13]
	v_mul_f64 v[64:65], v[10:11], v[52:53]
	;; [unrolled: 3-line block ×3, first 2 shown]
	v_fmac_f64_e32 v[58:59], v[10:11], v[46:47]
	v_fmac_f64_e32 v[60:61], v[12:13], v[46:47]
	;; [unrolled: 1-line block ×6, first 2 shown]
	ds_write_b128 v8, v[58:61] offset:16
	ds_write_b128 v8, v[62:65] offset:32
	;; [unrolled: 1-line block ×3, first 2 shown]
.LBB25_19:                              ;   in Loop: Header=BB25_12 Depth=2
	s_or_b64 exec, exec, s[26:27]
	s_mov_b64 s[26:27], -1
	s_and_saveexec_b64 s[28:29], s[2:3]
	s_cbranch_execz .LBB25_11
; %bb.20:                               ;   in Loop: Header=BB25_12 Depth=2
	v_add_u32_e32 v14, 64, v14
	v_cmp_ge_i32_e32 vcc, v14, v24
	v_add_u32_e32 v18, 0x100, v18
	s_orn2_b64 s[26:27], vcc, exec
	s_branch .LBB25_11
.LBB25_21:                              ;   in Loop: Header=BB25_9 Depth=1
	s_or_b64 exec, exec, s[24:25]
.LBB25_22:                              ;   in Loop: Header=BB25_9 Depth=1
	s_or_b64 exec, exec, s[8:9]
	v_cmp_lt_i32_e32 vcc, v16, v25
	s_waitcnt lgkmcnt(0)
	s_and_saveexec_b64 s[8:9], vcc
	s_cbranch_execz .LBB25_35
; %bb.23:                               ;   in Loop: Header=BB25_9 Depth=1
	v_lshlrev_b32_e32 v18, 2, v16
	s_mov_b64 s[24:25], 0
	s_branch .LBB25_25
.LBB25_24:                              ;   in Loop: Header=BB25_25 Depth=2
	s_or_b64 exec, exec, s[28:29]
	s_and_b64 s[2:3], exec, s[26:27]
	s_or_b64 s[24:25], s[2:3], s[24:25]
	s_andn2_b64 exec, exec, s[24:25]
	s_cbranch_execz .LBB25_34
.LBB25_25:                              ;   Parent Loop BB25_9 Depth=1
                                        ; =>  This Inner Loop Header: Depth=2
	v_ashrrev_i32_e32 v17, 31, v16
	s_waitcnt lgkmcnt(1)
	v_lshl_add_u64 v[6:7], v[16:17], 2, s[18:19]
	global_load_dword v6, v[6:7], off
	s_waitcnt vmcnt(0)
	v_subrev_u32_e32 v7, s5, v6
	v_sub_u32_e32 v6, v7, v35
	v_cmp_gt_u32_e64 s[2:3], 64, v6
	v_cmp_lt_u32_e32 vcc, 63, v6
	s_and_saveexec_b64 s[26:27], vcc
	s_xor_b64 s[26:27], exec, s[26:27]
; %bb.26:                               ;   in Loop: Header=BB25_25 Depth=2
	v_min_i32_e32 v41, v7, v41
                                        ; implicit-def: $vgpr6
; %bb.27:                               ;   in Loop: Header=BB25_25 Depth=2
	s_andn2_saveexec_b64 s[26:27], s[26:27]
	s_cbranch_execz .LBB25_32
; %bb.28:                               ;   in Loop: Header=BB25_25 Depth=2
	v_lshl_add_u64 v[20:21], v[18:19], 4, s[12:13]
	global_load_dwordx4 v[46:49], v[20:21], off
	v_lshlrev_b32_e32 v7, 6, v6
	v_add_u32_e32 v15, v23, v7
	ds_read_b128 v[50:53], v15
	v_add_u32_e32 v6, v22, v6
	ds_write_b8 v6, v40
	ds_read_b128 v[6:9], v15 offset:16
	s_and_b64 vcc, exec, s[0:1]
	s_mov_b64 s[28:29], -1
	s_waitcnt vmcnt(0) lgkmcnt(2)
	v_fmac_f64_e32 v[50:51], v[2:3], v[46:47]
	v_fmac_f64_e32 v[52:53], v[4:5], v[46:47]
	v_fma_f64 v[50:51], -v[4:5], v[48:49], v[50:51]
	v_fmac_f64_e32 v[52:53], v[2:3], v[48:49]
	ds_write_b128 v15, v[50:53]
	s_cbranch_vccnz .LBB25_30
; %bb.29:                               ;   in Loop: Header=BB25_25 Depth=2
	global_load_dwordx4 v[46:49], v[20:21], off offset:32
	global_load_dwordx4 v[50:53], v[20:21], off offset:16
	;; [unrolled: 1-line block ×3, first 2 shown]
	ds_read_b128 v[58:61], v15 offset:32
	ds_read_b128 v[62:65], v15 offset:48
	s_mov_b64 s[28:29], 0
	s_waitcnt vmcnt(2) lgkmcnt(3)
	v_fma_f64 v[66:67], v[2:3], v[46:47], v[6:7]
	v_fma_f64 v[68:69], v[4:5], v[46:47], v[8:9]
	s_waitcnt vmcnt(1) lgkmcnt(1)
	v_fmac_f64_e32 v[58:59], v[2:3], v[50:51]
	v_fmac_f64_e32 v[60:61], v[4:5], v[50:51]
	s_waitcnt vmcnt(0) lgkmcnt(0)
	v_fmac_f64_e32 v[62:63], v[2:3], v[54:55]
	v_fmac_f64_e32 v[64:65], v[4:5], v[54:55]
	v_fma_f64 v[66:67], -v[4:5], v[48:49], v[66:67]
	v_fmac_f64_e32 v[68:69], v[2:3], v[48:49]
	v_fma_f64 v[58:59], -v[4:5], v[52:53], v[58:59]
	;; [unrolled: 2-line block ×3, first 2 shown]
	v_fmac_f64_e32 v[64:65], v[2:3], v[56:57]
	ds_write_b128 v15, v[66:69] offset:16
	ds_write_b128 v15, v[58:61] offset:32
	;; [unrolled: 1-line block ×3, first 2 shown]
.LBB25_30:                              ;   in Loop: Header=BB25_25 Depth=2
	s_andn2_b64 vcc, exec, s[28:29]
	s_cbranch_vccnz .LBB25_32
; %bb.31:                               ;   in Loop: Header=BB25_25 Depth=2
	global_load_dwordx4 v[46:49], v[20:21], off offset:16
	global_load_dwordx4 v[50:53], v[20:21], off offset:32
	;; [unrolled: 1-line block ×3, first 2 shown]
	ds_read_b128 v[58:61], v15 offset:32
	ds_read_b128 v[62:65], v15 offset:48
	s_waitcnt vmcnt(2) lgkmcnt(3)
	v_fmac_f64_e32 v[6:7], v[2:3], v[46:47]
	v_fmac_f64_e32 v[8:9], v[4:5], v[46:47]
	s_waitcnt vmcnt(1) lgkmcnt(1)
	v_fmac_f64_e32 v[58:59], v[2:3], v[50:51]
	v_fmac_f64_e32 v[60:61], v[4:5], v[50:51]
	;; [unrolled: 3-line block ×3, first 2 shown]
	v_fma_f64 v[6:7], -v[4:5], v[48:49], v[6:7]
	v_fmac_f64_e32 v[8:9], v[2:3], v[48:49]
	v_fma_f64 v[58:59], -v[4:5], v[52:53], v[58:59]
	v_fmac_f64_e32 v[60:61], v[2:3], v[52:53]
	;; [unrolled: 2-line block ×3, first 2 shown]
	ds_write_b128 v15, v[6:9] offset:16
	ds_write_b128 v15, v[58:61] offset:32
	ds_write_b128 v15, v[62:65] offset:48
.LBB25_32:                              ;   in Loop: Header=BB25_25 Depth=2
	s_or_b64 exec, exec, s[26:27]
	s_mov_b64 s[26:27], -1
	s_and_saveexec_b64 s[28:29], s[2:3]
	s_cbranch_execz .LBB25_24
; %bb.33:                               ;   in Loop: Header=BB25_25 Depth=2
	v_add_u32_e32 v16, 64, v16
	v_cmp_ge_i32_e32 vcc, v16, v25
	v_add_u32_e32 v18, 0x100, v18
	s_orn2_b64 s[26:27], vcc, exec
	s_branch .LBB25_24
.LBB25_34:                              ;   in Loop: Header=BB25_9 Depth=1
	s_or_b64 exec, exec, s[24:25]
.LBB25_35:                              ;   in Loop: Header=BB25_9 Depth=1
	s_or_b64 exec, exec, s[8:9]
	s_waitcnt lgkmcnt(0)
	ds_read_u8 v6, v39
	s_waitcnt lgkmcnt(0)
	v_and_b32_e32 v7, 1, v6
	v_cmp_eq_u32_e64 s[2:3], 1, v7
	v_cmp_ne_u16_e32 vcc, 0, v6
	s_and_saveexec_b64 s[8:9], s[2:3]
	s_cbranch_execz .LBB25_8
; %bb.36:                               ;   in Loop: Header=BB25_9 Depth=1
	v_and_b32_e32 v7, vcc_lo, v0
	v_and_b32_e32 v6, vcc_hi, v1
	v_bcnt_u32_b32 v7, v7, 0
	v_bcnt_u32_b32 v6, v6, v7
	v_add3_u32 v6, v26, v6, -1
	v_ashrrev_i32_e32 v7, 31, v6
	v_add_u32_e32 v15, v28, v35
	v_lshl_add_u64 v[8:9], v[6:7], 2, s[20:21]
	global_store_dword v[8:9], v15, off
	v_lshlrev_b32_e32 v18, 2, v6
	ds_read2_b64 v[6:9], v27 offset1:1
	ds_read2_b64 v[46:49], v37 offset1:1
	;; [unrolled: 1-line block ×4, first 2 shown]
	v_lshl_add_u64 v[20:21], v[18:19], 4, s[22:23]
	s_waitcnt lgkmcnt(3)
	global_store_dwordx4 v[20:21], v[6:9], off
	s_waitcnt lgkmcnt(2)
	global_store_dwordx4 v[20:21], v[46:49], off offset:16
	s_waitcnt lgkmcnt(1)
	global_store_dwordx4 v[20:21], v[50:53], off offset:32
	;; [unrolled: 2-line block ×3, first 2 shown]
	s_branch .LBB25_8
.LBB25_37:
	s_endpgm
	.section	.rodata,"a",@progbits
	.p2align	6, 0x0
	.amdhsa_kernel _ZN9rocsparseL39bsrgeam_wf_per_row_multipass_2_3_kernelILj256ELj2ELj64E21rocsparse_complex_numIdEEEv20rocsparse_direction_iiiNS_24const_host_device_scalarIT2_EEPKiS8_PKS5_S6_S8_S8_SA_S8_PiPS5_21rocsparse_index_base_SD_SD_b
		.amdhsa_group_segment_fixed_size 16640
		.amdhsa_private_segment_fixed_size 16
		.amdhsa_kernarg_size 136
		.amdhsa_user_sgpr_count 2
		.amdhsa_user_sgpr_dispatch_ptr 0
		.amdhsa_user_sgpr_queue_ptr 0
		.amdhsa_user_sgpr_kernarg_segment_ptr 1
		.amdhsa_user_sgpr_dispatch_id 0
		.amdhsa_user_sgpr_kernarg_preload_length 0
		.amdhsa_user_sgpr_kernarg_preload_offset 0
		.amdhsa_user_sgpr_private_segment_size 0
		.amdhsa_uses_dynamic_stack 0
		.amdhsa_enable_private_segment 1
		.amdhsa_system_sgpr_workgroup_id_x 1
		.amdhsa_system_sgpr_workgroup_id_y 0
		.amdhsa_system_sgpr_workgroup_id_z 0
		.amdhsa_system_sgpr_workgroup_info 0
		.amdhsa_system_vgpr_workitem_id 0
		.amdhsa_next_free_vgpr 70
		.amdhsa_next_free_sgpr 30
		.amdhsa_accum_offset 72
		.amdhsa_reserve_vcc 1
		.amdhsa_float_round_mode_32 0
		.amdhsa_float_round_mode_16_64 0
		.amdhsa_float_denorm_mode_32 3
		.amdhsa_float_denorm_mode_16_64 3
		.amdhsa_dx10_clamp 1
		.amdhsa_ieee_mode 1
		.amdhsa_fp16_overflow 0
		.amdhsa_tg_split 0
		.amdhsa_exception_fp_ieee_invalid_op 0
		.amdhsa_exception_fp_denorm_src 0
		.amdhsa_exception_fp_ieee_div_zero 0
		.amdhsa_exception_fp_ieee_overflow 0
		.amdhsa_exception_fp_ieee_underflow 0
		.amdhsa_exception_fp_ieee_inexact 0
		.amdhsa_exception_int_div_zero 0
	.end_amdhsa_kernel
	.section	.text._ZN9rocsparseL39bsrgeam_wf_per_row_multipass_2_3_kernelILj256ELj2ELj64E21rocsparse_complex_numIdEEEv20rocsparse_direction_iiiNS_24const_host_device_scalarIT2_EEPKiS8_PKS5_S6_S8_S8_SA_S8_PiPS5_21rocsparse_index_base_SD_SD_b,"axG",@progbits,_ZN9rocsparseL39bsrgeam_wf_per_row_multipass_2_3_kernelILj256ELj2ELj64E21rocsparse_complex_numIdEEEv20rocsparse_direction_iiiNS_24const_host_device_scalarIT2_EEPKiS8_PKS5_S6_S8_S8_SA_S8_PiPS5_21rocsparse_index_base_SD_SD_b,comdat
.Lfunc_end25:
	.size	_ZN9rocsparseL39bsrgeam_wf_per_row_multipass_2_3_kernelILj256ELj2ELj64E21rocsparse_complex_numIdEEEv20rocsparse_direction_iiiNS_24const_host_device_scalarIT2_EEPKiS8_PKS5_S6_S8_S8_SA_S8_PiPS5_21rocsparse_index_base_SD_SD_b, .Lfunc_end25-_ZN9rocsparseL39bsrgeam_wf_per_row_multipass_2_3_kernelILj256ELj2ELj64E21rocsparse_complex_numIdEEEv20rocsparse_direction_iiiNS_24const_host_device_scalarIT2_EEPKiS8_PKS5_S6_S8_S8_SA_S8_PiPS5_21rocsparse_index_base_SD_SD_b
                                        ; -- End function
	.set _ZN9rocsparseL39bsrgeam_wf_per_row_multipass_2_3_kernelILj256ELj2ELj64E21rocsparse_complex_numIdEEEv20rocsparse_direction_iiiNS_24const_host_device_scalarIT2_EEPKiS8_PKS5_S6_S8_S8_SA_S8_PiPS5_21rocsparse_index_base_SD_SD_b.num_vgpr, 70
	.set _ZN9rocsparseL39bsrgeam_wf_per_row_multipass_2_3_kernelILj256ELj2ELj64E21rocsparse_complex_numIdEEEv20rocsparse_direction_iiiNS_24const_host_device_scalarIT2_EEPKiS8_PKS5_S6_S8_S8_SA_S8_PiPS5_21rocsparse_index_base_SD_SD_b.num_agpr, 0
	.set _ZN9rocsparseL39bsrgeam_wf_per_row_multipass_2_3_kernelILj256ELj2ELj64E21rocsparse_complex_numIdEEEv20rocsparse_direction_iiiNS_24const_host_device_scalarIT2_EEPKiS8_PKS5_S6_S8_S8_SA_S8_PiPS5_21rocsparse_index_base_SD_SD_b.numbered_sgpr, 30
	.set _ZN9rocsparseL39bsrgeam_wf_per_row_multipass_2_3_kernelILj256ELj2ELj64E21rocsparse_complex_numIdEEEv20rocsparse_direction_iiiNS_24const_host_device_scalarIT2_EEPKiS8_PKS5_S6_S8_S8_SA_S8_PiPS5_21rocsparse_index_base_SD_SD_b.num_named_barrier, 0
	.set _ZN9rocsparseL39bsrgeam_wf_per_row_multipass_2_3_kernelILj256ELj2ELj64E21rocsparse_complex_numIdEEEv20rocsparse_direction_iiiNS_24const_host_device_scalarIT2_EEPKiS8_PKS5_S6_S8_S8_SA_S8_PiPS5_21rocsparse_index_base_SD_SD_b.private_seg_size, 16
	.set _ZN9rocsparseL39bsrgeam_wf_per_row_multipass_2_3_kernelILj256ELj2ELj64E21rocsparse_complex_numIdEEEv20rocsparse_direction_iiiNS_24const_host_device_scalarIT2_EEPKiS8_PKS5_S6_S8_S8_SA_S8_PiPS5_21rocsparse_index_base_SD_SD_b.uses_vcc, 1
	.set _ZN9rocsparseL39bsrgeam_wf_per_row_multipass_2_3_kernelILj256ELj2ELj64E21rocsparse_complex_numIdEEEv20rocsparse_direction_iiiNS_24const_host_device_scalarIT2_EEPKiS8_PKS5_S6_S8_S8_SA_S8_PiPS5_21rocsparse_index_base_SD_SD_b.uses_flat_scratch, 0
	.set _ZN9rocsparseL39bsrgeam_wf_per_row_multipass_2_3_kernelILj256ELj2ELj64E21rocsparse_complex_numIdEEEv20rocsparse_direction_iiiNS_24const_host_device_scalarIT2_EEPKiS8_PKS5_S6_S8_S8_SA_S8_PiPS5_21rocsparse_index_base_SD_SD_b.has_dyn_sized_stack, 0
	.set _ZN9rocsparseL39bsrgeam_wf_per_row_multipass_2_3_kernelILj256ELj2ELj64E21rocsparse_complex_numIdEEEv20rocsparse_direction_iiiNS_24const_host_device_scalarIT2_EEPKiS8_PKS5_S6_S8_S8_SA_S8_PiPS5_21rocsparse_index_base_SD_SD_b.has_recursion, 0
	.set _ZN9rocsparseL39bsrgeam_wf_per_row_multipass_2_3_kernelILj256ELj2ELj64E21rocsparse_complex_numIdEEEv20rocsparse_direction_iiiNS_24const_host_device_scalarIT2_EEPKiS8_PKS5_S6_S8_S8_SA_S8_PiPS5_21rocsparse_index_base_SD_SD_b.has_indirect_call, 0
	.section	.AMDGPU.csdata,"",@progbits
; Kernel info:
; codeLenInByte = 2100
; TotalNumSgprs: 36
; NumVgprs: 70
; NumAgprs: 0
; TotalNumVgprs: 70
; ScratchSize: 16
; MemoryBound: 0
; FloatMode: 240
; IeeeMode: 1
; LDSByteSize: 16640 bytes/workgroup (compile time only)
; SGPRBlocks: 4
; VGPRBlocks: 8
; NumSGPRsForWavesPerEU: 36
; NumVGPRsForWavesPerEU: 70
; AccumOffset: 72
; Occupancy: 7
; WaveLimiterHint : 1
; COMPUTE_PGM_RSRC2:SCRATCH_EN: 1
; COMPUTE_PGM_RSRC2:USER_SGPR: 2
; COMPUTE_PGM_RSRC2:TRAP_HANDLER: 0
; COMPUTE_PGM_RSRC2:TGID_X_EN: 1
; COMPUTE_PGM_RSRC2:TGID_Y_EN: 0
; COMPUTE_PGM_RSRC2:TGID_Z_EN: 0
; COMPUTE_PGM_RSRC2:TIDIG_COMP_CNT: 0
; COMPUTE_PGM_RSRC3_GFX90A:ACCUM_OFFSET: 17
; COMPUTE_PGM_RSRC3_GFX90A:TG_SPLIT: 0
	.section	.text._ZN9rocsparseL39bsrgeam_wf_per_row_multipass_2_3_kernelILj256ELj3ELj32E21rocsparse_complex_numIdEEEv20rocsparse_direction_iiiNS_24const_host_device_scalarIT2_EEPKiS8_PKS5_S6_S8_S8_SA_S8_PiPS5_21rocsparse_index_base_SD_SD_b,"axG",@progbits,_ZN9rocsparseL39bsrgeam_wf_per_row_multipass_2_3_kernelILj256ELj3ELj32E21rocsparse_complex_numIdEEEv20rocsparse_direction_iiiNS_24const_host_device_scalarIT2_EEPKiS8_PKS5_S6_S8_S8_SA_S8_PiPS5_21rocsparse_index_base_SD_SD_b,comdat
	.globl	_ZN9rocsparseL39bsrgeam_wf_per_row_multipass_2_3_kernelILj256ELj3ELj32E21rocsparse_complex_numIdEEEv20rocsparse_direction_iiiNS_24const_host_device_scalarIT2_EEPKiS8_PKS5_S6_S8_S8_SA_S8_PiPS5_21rocsparse_index_base_SD_SD_b ; -- Begin function _ZN9rocsparseL39bsrgeam_wf_per_row_multipass_2_3_kernelILj256ELj3ELj32E21rocsparse_complex_numIdEEEv20rocsparse_direction_iiiNS_24const_host_device_scalarIT2_EEPKiS8_PKS5_S6_S8_S8_SA_S8_PiPS5_21rocsparse_index_base_SD_SD_b
	.p2align	8
	.type	_ZN9rocsparseL39bsrgeam_wf_per_row_multipass_2_3_kernelILj256ELj3ELj32E21rocsparse_complex_numIdEEEv20rocsparse_direction_iiiNS_24const_host_device_scalarIT2_EEPKiS8_PKS5_S6_S8_S8_SA_S8_PiPS5_21rocsparse_index_base_SD_SD_b,@function
_ZN9rocsparseL39bsrgeam_wf_per_row_multipass_2_3_kernelILj256ELj3ELj32E21rocsparse_complex_numIdEEEv20rocsparse_direction_iiiNS_24const_host_device_scalarIT2_EEPKiS8_PKS5_S6_S8_S8_SA_S8_PiPS5_21rocsparse_index_base_SD_SD_b: ; @_ZN9rocsparseL39bsrgeam_wf_per_row_multipass_2_3_kernelILj256ELj3ELj32E21rocsparse_complex_numIdEEEv20rocsparse_direction_iiiNS_24const_host_device_scalarIT2_EEPKiS8_PKS5_S6_S8_S8_SA_S8_PiPS5_21rocsparse_index_base_SD_SD_b
; %bb.0:
	s_load_dwordx4 s[4:7], s[0:1], 0x78
	s_load_dwordx4 s[8:11], s[0:1], 0x10
	s_mov_b64 s[12:13], src_private_base
	s_waitcnt lgkmcnt(0)
	s_bitcmp1_b32 s7, 0
	s_cselect_b64 s[20:21], -1, 0
	s_and_b64 vcc, s[20:21], exec
	v_mov_b64_e32 v[2:3], s[8:9]
	s_cselect_b32 s3, s13, s9
	s_cselect_b32 s7, 0, s8
	scratch_store_dwordx2 off, v[2:3], off
	v_mov_b32_e32 v2, s7
	v_mov_b32_e32 v3, s3
	flat_load_dwordx2 v[10:11], v[2:3]
	v_mov_b64_e32 v[12:13], s[10:11]
	s_cbranch_vccnz .LBB26_2
; %bb.1:
	v_mov_b64_e32 v[2:3], s[8:9]
	flat_load_dwordx2 v[12:13], v[2:3] offset:8
.LBB26_2:
	s_load_dwordx4 s[8:11], s[0:1], 0x0
	s_lshl_b32 s2, s2, 3
	v_lshrrev_b32_e32 v1, 5, v0
	s_and_b32 s2, s2, 0x7fffff8
	v_or_b32_e32 v2, s2, v1
	s_waitcnt lgkmcnt(0)
	v_cmp_gt_i32_e32 vcc, s9, v2
	s_and_saveexec_b64 s[2:3], vcc
	s_cbranch_execz .LBB26_37
; %bb.3:
	s_load_dwordx4 s[12:15], s[0:1], 0x20
	s_load_dwordx2 s[2:3], s[0:1], 0x38
	s_load_dwordx2 s[22:23], s[0:1], 0x60
	s_load_dwordx4 s[16:19], s[0:1], 0x48
	s_add_u32 s7, s0, 56
	s_addc_u32 s9, s1, 0
	s_and_b64 s[20:21], s[20:21], exec
	s_waitcnt lgkmcnt(0)
	s_cselect_b32 s3, s9, s3
	s_cselect_b32 s2, s7, s2
	v_lshlrev_b32_e32 v16, 2, v2
	v_mov_b32_e32 v14, s2
	v_mov_b32_e32 v15, s3
	global_load_dwordx2 v[6:7], v16, s[12:13]
	global_load_dwordx2 v[8:9], v16, s[16:17]
	global_load_dword v18, v16, s[22:23]
	flat_load_dwordx4 v[2:5], v[14:15]
	s_waitcnt vmcnt(0)
	v_subrev_u32_e32 v14, s4, v6
	v_cmp_lt_i32_e32 vcc, v6, v7
	v_mov_b32_e32 v6, s10
	s_and_saveexec_b64 s[2:3], vcc
	s_cbranch_execz .LBB26_5
; %bb.4:
	v_ashrrev_i32_e32 v15, 31, v14
	v_lshl_add_u64 v[16:17], v[14:15], 2, s[14:15]
	global_load_dword v6, v[16:17], off
	s_waitcnt vmcnt(0)
	v_subrev_u32_e32 v6, s4, v6
.LBB26_5:
	s_or_b64 exec, exec, s[2:3]
	s_load_dwordx4 s[20:23], s[0:1], 0x68
	s_load_dwordx2 s[12:13], s[0:1], 0x58
	s_load_dwordx2 s[16:17], s[0:1], 0x30
	v_subrev_u32_e32 v16, s5, v8
	v_cmp_lt_i32_e32 vcc, v8, v9
	v_mov_b32_e32 v8, s10
	s_and_saveexec_b64 s[0:1], vcc
	s_cbranch_execz .LBB26_7
; %bb.6:
	v_ashrrev_i32_e32 v17, 31, v16
	v_lshl_add_u64 v[20:21], v[16:17], 2, s[18:19]
	global_load_dword v8, v[20:21], off
	s_waitcnt vmcnt(0)
	v_subrev_u32_e32 v8, s5, v8
.LBB26_7:
	s_or_b64 exec, exec, s[0:1]
	v_subrev_u32_e32 v34, s4, v7
	v_and_b32_e32 v7, 31, v0
	s_movk_i32 s0, 0x1200
	v_min_i32_e32 v55, v8, v6
	v_mul_u32_u24_e32 v6, 0x90, v7
	v_mul_u32_u24_e32 v33, 0x1200, v1
	v_mad_u32_u24 v37, v1, s0, v6
	v_mbcnt_lo_u32_b32 v1, -1, 0
	v_mbcnt_hi_u32_b32 v1, -1, v1
	v_and_b32_e32 v15, 0xe0, v0
	v_and_b32_e32 v6, 64, v1
	v_bitop3_b32 v0, v0, 31, v0 bitop3:0xc
	v_add_u32_e32 v6, 64, v6
	v_lshrrev_b32_e64 v38, v0, -1
	v_xor_b32_e32 v0, 16, v1
	v_cmp_lt_i32_e32 vcc, v0, v6
	v_xor_b32_e32 v19, 8, v1
	s_cmp_lg_u32 s8, 0
	v_cndmask_b32_e32 v0, v1, v0, vcc
	v_cmp_lt_i32_e32 vcc, v19, v6
	s_mov_b32 s0, 0
	s_cselect_b64 s[24:25], -1, 0
	v_cndmask_b32_e32 v19, v1, v19, vcc
	v_lshlrev_b32_e32 v43, 2, v19
	v_xor_b32_e32 v19, 4, v1
	v_cmp_lt_i32_e32 vcc, v19, v6
	s_cmp_eq_u32 s8, 0
	v_subrev_u32_e32 v35, s5, v9
	v_cndmask_b32_e32 v19, v1, v19, vcc
	v_lshlrev_b32_e32 v44, 2, v19
	v_xor_b32_e32 v19, 2, v1
	v_cmp_lt_i32_e32 vcc, v19, v6
	v_lshlrev_b32_e32 v40, 2, v0
	v_add_u32_e32 v0, 16, v37
	v_cndmask_b32_e32 v19, v1, v19, vcc
	v_lshlrev_b32_e32 v45, 2, v19
	v_xor_b32_e32 v19, 1, v1
	v_cmp_lt_i32_e32 vcc, v19, v6
	v_add_u32_e32 v9, 48, v37
	s_mov_b32 s2, s0
	v_cndmask_b32_e32 v1, v1, v19, vcc
	s_cselect_b64 vcc, -1, 0
	s_mov_b32 s3, s0
	v_or_b32_e32 v32, 0x9000, v15
	v_subrev_u32_e32 v36, s6, v18
	v_add_u32_e32 v8, 32, v37
	v_add_u32_e32 v15, 0x50, v37
	v_add_u32_e32 v17, 0x60, v37
	v_add_u32_e32 v18, 0x70, v37
	v_cndmask_b32_e32 v47, v9, v0, vcc
	v_cndmask_b32_e32 v49, v0, v9, vcc
	s_mov_b32 s1, s0
	v_mov_b64_e32 v[60:61], s[2:3]
	v_cndmask_b32_e64 v0, 0, 1, s[24:25]
	v_add_u32_e32 v14, v14, v7
	v_add_u32_e32 v16, v16, v7
	s_movk_i32 s11, 0x90
	v_add_u32_e32 v39, s6, v7
	v_add_u32_e32 v41, 64, v37
	;; [unrolled: 1-line block ×3, first 2 shown]
	v_lshlrev_b32_e32 v46, 2, v1
	v_cndmask_b32_e32 v48, v17, v8, vcc
	v_cndmask_b32_e32 v50, v18, v15, vcc
	;; [unrolled: 1-line block ×4, first 2 shown]
	s_mov_b64 s[6:7], 0
	v_add_u32_e32 v53, v32, v7
	v_mov_b32_e32 v1, 0
	v_mov_b64_e32 v[58:59], s[0:1]
	v_mov_b32_e32 v54, 1
	v_cmp_ne_u32_e64 s[0:1], 1, v0
	s_branch .LBB26_9
.LBB26_8:                               ;   in Loop: Header=BB26_9 Depth=1
	s_or_b64 exec, exec, s[8:9]
	ds_bpermute_b32 v0, v40, v56
	s_bcnt1_i32_b64 s2, vcc
	v_add_u32_e32 v36, s2, v36
	s_waitcnt lgkmcnt(0)
	v_min_i32_e32 v0, v0, v56
	ds_bpermute_b32 v6, v43, v0
	s_waitcnt lgkmcnt(0)
	v_min_i32_e32 v0, v6, v0
	ds_bpermute_b32 v6, v44, v0
	;; [unrolled: 3-line block ×4, first 2 shown]
	s_waitcnt lgkmcnt(0)
	v_min_i32_e32 v55, v6, v0
	v_cmp_le_i32_e32 vcc, s10, v55
	s_or_b64 s[6:7], vcc, s[6:7]
	s_andn2_b64 exec, exec, s[6:7]
	s_cbranch_execz .LBB26_37
.LBB26_9:                               ; =>This Loop Header: Depth=1
                                        ;     Child Loop BB26_12 Depth 2
                                        ;     Child Loop BB26_25 Depth 2
	v_cmp_lt_i32_e32 vcc, v14, v34
	v_mov_b32_e32 v56, s10
	ds_write_b8 v53, v1
	ds_write_b128 v37, v[58:61]
	ds_write_b128 v37, v[58:61] offset:16
	ds_write_b128 v37, v[58:61] offset:32
	;; [unrolled: 1-line block ×8, first 2 shown]
	s_waitcnt lgkmcnt(0)
	s_and_saveexec_b64 s[8:9], vcc
	s_cbranch_execz .LBB26_22
; %bb.10:                               ;   in Loop: Header=BB26_9 Depth=1
	v_mad_u64_u32 v[6:7], s[2:3], v14, 9, 8
	s_mov_b64 s[24:25], 0
	v_mov_b32_e32 v56, s10
	s_branch .LBB26_12
.LBB26_11:                              ;   in Loop: Header=BB26_12 Depth=2
	s_or_b64 exec, exec, s[28:29]
	s_and_b64 s[2:3], exec, s[26:27]
	s_or_b64 s[24:25], s[2:3], s[24:25]
	s_andn2_b64 exec, exec, s[24:25]
	s_cbranch_execz .LBB26_21
.LBB26_12:                              ;   Parent Loop BB26_9 Depth=1
                                        ; =>  This Inner Loop Header: Depth=2
	v_ashrrev_i32_e32 v15, 31, v14
	v_lshl_add_u64 v[8:9], v[14:15], 2, s[14:15]
	global_load_dword v0, v[8:9], off
	s_waitcnt vmcnt(0)
	v_subrev_u32_e32 v0, s4, v0
	v_sub_u32_e32 v7, v0, v55
	v_cmp_gt_u32_e64 s[2:3], 32, v7
	v_cmp_lt_u32_e32 vcc, 31, v7
	s_and_saveexec_b64 s[26:27], vcc
	s_xor_b64 s[26:27], exec, s[26:27]
; %bb.13:                               ;   in Loop: Header=BB26_12 Depth=2
	v_min_i32_e32 v56, v0, v56
                                        ; implicit-def: $vgpr7
; %bb.14:                               ;   in Loop: Header=BB26_12 Depth=2
	s_andn2_saveexec_b64 s[26:27], s[26:27]
	s_cbranch_execz .LBB26_19
; %bb.15:                               ;   in Loop: Header=BB26_12 Depth=2
	v_add_u32_e32 v0, -8, v6
	v_lshl_add_u64 v[8:9], v[0:1], 4, s[16:17]
	global_load_dwordx4 v[28:31], v[8:9], off
	v_add_u32_e32 v0, v32, v7
	v_mul_lo_u32 v7, v7, s11
	s_mov_b64 s[28:29], -1
	s_and_b64 vcc, exec, s[0:1]
	v_add_u32_e32 v18, -2, v6
	v_add_u32_e32 v26, -7, v6
	;; [unrolled: 1-line block ×5, first 2 shown]
	ds_write_b8 v0, v54
	v_add_u32_e32 v15, v33, v7
	v_add_u32_e32 v0, -5, v6
	v_add_u32_e32 v20, -3, v6
	s_waitcnt vmcnt(0)
	v_mul_f64 v[62:63], v[30:31], -v[12:13]
	v_mul_f64 v[64:65], v[10:11], v[30:31]
	v_fmac_f64_e32 v[62:63], v[10:11], v[28:29]
	v_fmac_f64_e32 v[64:65], v[12:13], v[28:29]
	ds_write_b128 v15, v[62:65]
	s_cbranch_vccnz .LBB26_17
; %bb.16:                               ;   in Loop: Header=BB26_12 Depth=2
	v_mov_b32_e32 v19, v1
	v_mov_b32_e32 v27, v1
	;; [unrolled: 1-line block ×4, first 2 shown]
	v_lshl_add_u64 v[66:67], v[0:1], 4, s[16:17]
	v_lshl_add_u64 v[68:69], v[18:19], 4, s[16:17]
	;; [unrolled: 1-line block ×5, first 2 shown]
	v_mov_b32_e32 v25, v1
	v_mov_b32_e32 v21, v1
	;; [unrolled: 1-line block ×3, first 2 shown]
	global_load_dwordx4 v[28:31], v[66:67], off
	global_load_dwordx4 v[62:65], v[68:69], off
	s_nop 0
	global_load_dwordx4 v[66:69], v[74:75], off
	global_load_dwordx4 v[70:73], v[76:77], off
	v_lshl_add_u64 v[84:85], v[24:25], 4, s[16:17]
	global_load_dwordx4 v[74:77], v[82:83], off
	global_load_dwordx4 v[78:81], v[84:85], off
	v_lshl_add_u64 v[82:83], v[20:21], 4, s[16:17]
	v_lshl_add_u64 v[86:87], v[6:7], 4, s[16:17]
	global_load_dwordx4 v[82:85], v[82:83], off
	s_mov_b64 s[28:29], 0
	global_load_dwordx4 v[86:89], v[86:87], off
	s_waitcnt vmcnt(7)
	v_mul_f64 v[90:91], v[30:31], -v[12:13]
	v_mul_f64 v[92:93], v[10:11], v[30:31]
	v_fmac_f64_e32 v[90:91], v[10:11], v[28:29]
	v_fmac_f64_e32 v[92:93], v[12:13], v[28:29]
	s_waitcnt vmcnt(6)
	v_mul_f64 v[28:29], v[64:65], -v[12:13]
	v_mul_f64 v[30:31], v[10:11], v[64:65]
	s_waitcnt vmcnt(5)
	v_mul_f64 v[94:95], v[68:69], -v[12:13]
	v_mul_f64 v[96:97], v[10:11], v[68:69]
	;; [unrolled: 3-line block ×7, first 2 shown]
	v_fmac_f64_e32 v[28:29], v[10:11], v[62:63]
	v_fmac_f64_e32 v[30:31], v[12:13], v[62:63]
	ds_write_b128 v15, v[90:93] offset:16
	v_fmac_f64_e32 v[94:95], v[10:11], v[66:67]
	v_fmac_f64_e32 v[96:97], v[12:13], v[66:67]
	;; [unrolled: 1-line block ×12, first 2 shown]
	ds_write_b128 v15, v[28:31] offset:32
	ds_write_b128 v15, v[94:97] offset:48
	;; [unrolled: 1-line block ×7, first 2 shown]
.LBB26_17:                              ;   in Loop: Header=BB26_12 Depth=2
	s_andn2_b64 vcc, exec, s[28:29]
	s_cbranch_vccnz .LBB26_19
; %bb.18:                               ;   in Loop: Header=BB26_12 Depth=2
	v_mov_b32_e32 v27, v1
	v_mov_b32_e32 v25, v1
	;; [unrolled: 1-line block ×3, first 2 shown]
	v_lshl_add_u64 v[66:67], v[26:27], 4, s[16:17]
	v_lshl_add_u64 v[68:69], v[24:25], 4, s[16:17]
	;; [unrolled: 1-line block ×4, first 2 shown]
	v_mov_b32_e32 v21, v1
	v_mov_b32_e32 v19, v1
	v_mov_b32_e32 v9, v1
	global_load_dwordx4 v[24:27], v[70:71], off
	global_load_dwordx4 v[28:31], v[66:67], off
	;; [unrolled: 1-line block ×3, first 2 shown]
	v_lshl_add_u64 v[74:75], v[18:19], 4, s[16:17]
	global_load_dwordx4 v[66:69], v[22:23], off
	v_lshl_add_u64 v[22:23], v[20:21], 4, s[16:17]
	v_lshl_add_u64 v[8:9], v[8:9], 4, s[16:17]
	v_mov_b32_e32 v7, v1
	global_load_dwordx4 v[18:21], v[22:23], off
	global_load_dwordx4 v[70:73], v[74:75], off
	s_waitcnt vmcnt(5)
	v_mul_f64 v[82:83], v[26:27], -v[12:13]
	global_load_dwordx4 v[74:77], v[8:9], off
	v_lshl_add_u64 v[8:9], v[6:7], 4, s[16:17]
	global_load_dwordx4 v[78:81], v[8:9], off
	v_mul_f64 v[84:85], v[10:11], v[26:27]
	s_waitcnt vmcnt(6)
	v_mul_f64 v[86:87], v[30:31], -v[12:13]
	v_mul_f64 v[88:89], v[10:11], v[30:31]
	s_waitcnt vmcnt(5)
	v_mul_f64 v[90:91], v[64:65], -v[12:13]
	v_mul_f64 v[92:93], v[10:11], v[64:65]
	v_fmac_f64_e32 v[82:83], v[10:11], v[24:25]
	v_fmac_f64_e32 v[84:85], v[12:13], v[24:25]
	s_waitcnt vmcnt(4)
	v_mul_f64 v[22:23], v[68:69], -v[12:13]
	v_mul_f64 v[24:25], v[10:11], v[68:69]
	s_waitcnt vmcnt(3)
	v_mul_f64 v[94:95], v[20:21], -v[12:13]
	v_mul_f64 v[96:97], v[10:11], v[20:21]
	;; [unrolled: 3-line block ×3, first 2 shown]
	v_fmac_f64_e32 v[86:87], v[10:11], v[28:29]
	v_fmac_f64_e32 v[88:89], v[12:13], v[28:29]
	;; [unrolled: 1-line block ×4, first 2 shown]
	ds_write_b128 v15, v[82:85] offset:48
	v_fmac_f64_e32 v[22:23], v[10:11], v[66:67]
	v_fmac_f64_e32 v[24:25], v[12:13], v[66:67]
	;; [unrolled: 1-line block ×6, first 2 shown]
	s_waitcnt vmcnt(1)
	v_mul_f64 v[102:103], v[76:77], -v[12:13]
	v_mul_f64 v[104:105], v[10:11], v[76:77]
	s_waitcnt vmcnt(0)
	v_mul_f64 v[106:107], v[80:81], -v[12:13]
	v_mul_f64 v[108:109], v[10:11], v[80:81]
	v_fmac_f64_e32 v[102:103], v[10:11], v[74:75]
	v_fmac_f64_e32 v[104:105], v[12:13], v[74:75]
	;; [unrolled: 1-line block ×4, first 2 shown]
	ds_write_b128 v15, v[86:89] offset:16
	ds_write_b128 v15, v[90:93] offset:32
	;; [unrolled: 1-line block ×7, first 2 shown]
.LBB26_19:                              ;   in Loop: Header=BB26_12 Depth=2
	s_or_b64 exec, exec, s[26:27]
	s_mov_b64 s[26:27], -1
	s_and_saveexec_b64 s[28:29], s[2:3]
	s_cbranch_execz .LBB26_11
; %bb.20:                               ;   in Loop: Header=BB26_12 Depth=2
	v_add_u32_e32 v14, 32, v14
	v_cmp_ge_i32_e32 vcc, v14, v34
	v_add_u32_e32 v6, 0x120, v6
	s_orn2_b64 s[26:27], vcc, exec
	s_branch .LBB26_11
.LBB26_21:                              ;   in Loop: Header=BB26_9 Depth=1
	s_or_b64 exec, exec, s[24:25]
.LBB26_22:                              ;   in Loop: Header=BB26_9 Depth=1
	s_or_b64 exec, exec, s[8:9]
	v_cmp_lt_i32_e32 vcc, v16, v35
	s_waitcnt lgkmcnt(0)
	s_and_saveexec_b64 s[8:9], vcc
	s_cbranch_execz .LBB26_35
; %bb.23:                               ;   in Loop: Header=BB26_9 Depth=1
	v_mad_u64_u32 v[18:19], s[2:3], v16, 9, 8
	s_mov_b64 s[24:25], 0
	s_branch .LBB26_25
.LBB26_24:                              ;   in Loop: Header=BB26_25 Depth=2
	s_or_b64 exec, exec, s[28:29]
	s_and_b64 s[2:3], exec, s[26:27]
	s_or_b64 s[24:25], s[2:3], s[24:25]
	s_andn2_b64 exec, exec, s[24:25]
	s_cbranch_execz .LBB26_34
.LBB26_25:                              ;   Parent Loop BB26_9 Depth=1
                                        ; =>  This Inner Loop Header: Depth=2
	v_ashrrev_i32_e32 v17, 31, v16
	s_waitcnt lgkmcnt(2)
	v_lshl_add_u64 v[6:7], v[16:17], 2, s[18:19]
	global_load_dword v0, v[6:7], off
	s_waitcnt vmcnt(0)
	v_subrev_u32_e32 v0, s5, v0
	v_sub_u32_e32 v6, v0, v55
	v_cmp_gt_u32_e64 s[2:3], 32, v6
	v_cmp_lt_u32_e32 vcc, 31, v6
	s_and_saveexec_b64 s[26:27], vcc
	s_xor_b64 s[26:27], exec, s[26:27]
; %bb.26:                               ;   in Loop: Header=BB26_25 Depth=2
	v_min_i32_e32 v56, v0, v56
                                        ; implicit-def: $vgpr6
; %bb.27:                               ;   in Loop: Header=BB26_25 Depth=2
	s_andn2_saveexec_b64 s[26:27], s[26:27]
	s_cbranch_execz .LBB26_32
; %bb.28:                               ;   in Loop: Header=BB26_25 Depth=2
	v_add_u32_e32 v0, -8, v18
	v_lshl_add_u64 v[8:9], v[0:1], 4, s[12:13]
	global_load_dwordx4 v[62:65], v[8:9], off
	v_add_u32_e32 v0, v32, v6
	v_mul_lo_u32 v6, v6, s11
	v_add_u32_e32 v15, v33, v6
	ds_read_b128 v[66:69], v15
	ds_read_b128 v[6:9], v15 offset:16
	s_mov_b64 s[28:29], -1
	s_and_b64 vcc, exec, s[0:1]
	v_add_u32_e32 v22, -2, v18
	v_add_u32_e32 v30, -7, v18
	v_add_u32_e32 v26, -4, v18
	v_add_u32_e32 v20, -1, v18
	v_add_u32_e32 v28, -6, v18
	ds_write_b8 v0, v54
	v_add_u32_e32 v0, -5, v18
	v_add_u32_e32 v24, -3, v18
	s_waitcnt vmcnt(0) lgkmcnt(2)
	v_fmac_f64_e32 v[66:67], v[2:3], v[62:63]
	v_fmac_f64_e32 v[68:69], v[4:5], v[62:63]
	v_fma_f64 v[66:67], -v[4:5], v[64:65], v[66:67]
	v_fmac_f64_e32 v[68:69], v[2:3], v[64:65]
	ds_write_b128 v15, v[66:69]
	s_cbranch_vccnz .LBB26_30
; %bb.29:                               ;   in Loop: Header=BB26_25 Depth=2
	v_mov_b32_e32 v23, v1
	v_mov_b32_e32 v31, v1
	;; [unrolled: 1-line block ×4, first 2 shown]
	v_lshl_add_u64 v[70:71], v[0:1], 4, s[12:13]
	v_lshl_add_u64 v[72:73], v[22:23], 4, s[12:13]
	;; [unrolled: 1-line block ×5, first 2 shown]
	v_mov_b32_e32 v29, v1
	v_mov_b32_e32 v25, v1
	;; [unrolled: 1-line block ×3, first 2 shown]
	global_load_dwordx4 v[62:65], v[70:71], off
	global_load_dwordx4 v[66:69], v[72:73], off
	s_nop 0
	global_load_dwordx4 v[70:73], v[78:79], off
	global_load_dwordx4 v[74:77], v[80:81], off
	v_lshl_add_u64 v[88:89], v[28:29], 4, s[12:13]
	global_load_dwordx4 v[78:81], v[86:87], off
	global_load_dwordx4 v[82:85], v[88:89], off
	v_lshl_add_u64 v[86:87], v[24:25], 4, s[12:13]
	v_lshl_add_u64 v[90:91], v[18:19], 4, s[12:13]
	global_load_dwordx4 v[86:89], v[86:87], off
	s_mov_b64 s[28:29], 0
	global_load_dwordx4 v[90:93], v[90:91], off
	ds_read_b128 v[94:97], v15 offset:32
	ds_read_b128 v[98:101], v15 offset:48
	;; [unrolled: 1-line block ×7, first 2 shown]
	s_waitcnt vmcnt(7) lgkmcnt(9)
	v_fma_f64 v[122:123], v[2:3], v[62:63], v[6:7]
	v_fma_f64 v[124:125], v[4:5], v[62:63], v[8:9]
	s_waitcnt vmcnt(6) lgkmcnt(6)
	v_fmac_f64_e32 v[94:95], v[2:3], v[66:67]
	v_fmac_f64_e32 v[96:97], v[4:5], v[66:67]
	v_fma_f64 v[122:123], -v[4:5], v[64:65], v[122:123]
	v_fmac_f64_e32 v[124:125], v[2:3], v[64:65]
	s_waitcnt vmcnt(5) lgkmcnt(5)
	v_fmac_f64_e32 v[98:99], v[2:3], v[70:71]
	v_fmac_f64_e32 v[100:101], v[4:5], v[70:71]
	s_waitcnt vmcnt(4) lgkmcnt(4)
	v_fmac_f64_e32 v[102:103], v[2:3], v[74:75]
	v_fmac_f64_e32 v[104:105], v[4:5], v[74:75]
	s_waitcnt vmcnt(3) lgkmcnt(3)
	v_fmac_f64_e32 v[106:107], v[2:3], v[78:79]
	v_fmac_f64_e32 v[108:109], v[4:5], v[78:79]
	s_waitcnt vmcnt(2) lgkmcnt(2)
	v_fmac_f64_e32 v[110:111], v[2:3], v[82:83]
	v_fmac_f64_e32 v[112:113], v[4:5], v[82:83]
	s_waitcnt vmcnt(1) lgkmcnt(1)
	v_fmac_f64_e32 v[114:115], v[2:3], v[86:87]
	v_fmac_f64_e32 v[116:117], v[4:5], v[86:87]
	s_waitcnt vmcnt(0) lgkmcnt(0)
	v_fmac_f64_e32 v[118:119], v[2:3], v[90:91]
	v_fmac_f64_e32 v[120:121], v[4:5], v[90:91]
	v_fma_f64 v[94:95], -v[4:5], v[68:69], v[94:95]
	v_fmac_f64_e32 v[96:97], v[2:3], v[68:69]
	ds_write_b128 v15, v[122:125] offset:16
	v_fma_f64 v[98:99], -v[4:5], v[72:73], v[98:99]
	v_fmac_f64_e32 v[100:101], v[2:3], v[72:73]
	v_fma_f64 v[102:103], -v[4:5], v[76:77], v[102:103]
	v_fmac_f64_e32 v[104:105], v[2:3], v[76:77]
	;; [unrolled: 2-line block ×6, first 2 shown]
	ds_write_b128 v15, v[94:97] offset:32
	ds_write_b128 v15, v[98:101] offset:48
	;; [unrolled: 1-line block ×7, first 2 shown]
.LBB26_30:                              ;   in Loop: Header=BB26_25 Depth=2
	s_andn2_b64 vcc, exec, s[28:29]
	s_cbranch_vccnz .LBB26_32
; %bb.31:                               ;   in Loop: Header=BB26_25 Depth=2
	v_mov_b32_e32 v31, v1
	v_mov_b32_e32 v29, v1
	v_mov_b32_e32 v27, v1
	v_lshl_add_u64 v[70:71], v[30:31], 4, s[12:13]
	v_lshl_add_u64 v[72:73], v[28:29], 4, s[12:13]
	;; [unrolled: 1-line block ×4, first 2 shown]
	v_mov_b32_e32 v25, v1
	v_mov_b32_e32 v23, v1
	;; [unrolled: 1-line block ×3, first 2 shown]
	global_load_dwordx4 v[28:31], v[74:75], off
	global_load_dwordx4 v[62:65], v[70:71], off
	;; [unrolled: 1-line block ×3, first 2 shown]
	v_lshl_add_u64 v[78:79], v[22:23], 4, s[12:13]
	global_load_dwordx4 v[70:73], v[26:27], off
	v_lshl_add_u64 v[26:27], v[24:25], 4, s[12:13]
	v_lshl_add_u64 v[20:21], v[20:21], 4, s[12:13]
	v_mov_b32_e32 v19, v1
	global_load_dwordx4 v[22:25], v[26:27], off
	global_load_dwordx4 v[74:77], v[78:79], off
	s_waitcnt vmcnt(4) lgkmcnt(2)
	v_fmac_f64_e32 v[6:7], v[2:3], v[62:63]
	global_load_dwordx4 v[78:81], v[20:21], off
	v_lshl_add_u64 v[20:21], v[18:19], 4, s[12:13]
	global_load_dwordx4 v[82:85], v[20:21], off
	ds_read_b128 v[86:89], v15 offset:32
	ds_read_b128 v[90:93], v15 offset:48
	;; [unrolled: 1-line block ×7, first 2 shown]
	s_waitcnt lgkmcnt(5)
	v_fmac_f64_e32 v[90:91], v[2:3], v[28:29]
	v_fmac_f64_e32 v[92:93], v[4:5], v[28:29]
	;; [unrolled: 1-line block ×3, first 2 shown]
	s_waitcnt vmcnt(5)
	v_fmac_f64_e32 v[86:87], v[2:3], v[66:67]
	v_fmac_f64_e32 v[88:89], v[4:5], v[66:67]
	v_fma_f64 v[90:91], -v[4:5], v[30:31], v[90:91]
	v_fmac_f64_e32 v[92:93], v[2:3], v[30:31]
	s_waitcnt vmcnt(4) lgkmcnt(4)
	v_fmac_f64_e32 v[94:95], v[2:3], v[70:71]
	v_fmac_f64_e32 v[96:97], v[4:5], v[70:71]
	s_waitcnt vmcnt(3) lgkmcnt(3)
	v_fmac_f64_e32 v[98:99], v[2:3], v[22:23]
	;; [unrolled: 3-line block ×3, first 2 shown]
	v_fmac_f64_e32 v[104:105], v[4:5], v[74:75]
	v_fma_f64 v[6:7], -v[4:5], v[64:65], v[6:7]
	v_fmac_f64_e32 v[8:9], v[2:3], v[64:65]
	v_fma_f64 v[86:87], -v[4:5], v[68:69], v[86:87]
	v_fmac_f64_e32 v[88:89], v[2:3], v[68:69]
	ds_write_b128 v15, v[90:93] offset:48
	v_fma_f64 v[94:95], -v[4:5], v[72:73], v[94:95]
	v_fmac_f64_e32 v[96:97], v[2:3], v[72:73]
	v_fma_f64 v[98:99], -v[4:5], v[24:25], v[98:99]
	v_fmac_f64_e32 v[100:101], v[2:3], v[24:25]
	;; [unrolled: 2-line block ×3, first 2 shown]
	s_waitcnt vmcnt(1) lgkmcnt(2)
	v_fmac_f64_e32 v[106:107], v[2:3], v[78:79]
	v_fmac_f64_e32 v[108:109], v[4:5], v[78:79]
	s_waitcnt vmcnt(0) lgkmcnt(1)
	v_fmac_f64_e32 v[110:111], v[2:3], v[82:83]
	v_fmac_f64_e32 v[112:113], v[4:5], v[82:83]
	v_fma_f64 v[106:107], -v[4:5], v[80:81], v[106:107]
	v_fmac_f64_e32 v[108:109], v[2:3], v[80:81]
	v_fma_f64 v[110:111], -v[4:5], v[84:85], v[110:111]
	v_fmac_f64_e32 v[112:113], v[2:3], v[84:85]
	ds_write_b128 v15, v[6:9] offset:16
	ds_write_b128 v15, v[86:89] offset:32
	;; [unrolled: 1-line block ×7, first 2 shown]
.LBB26_32:                              ;   in Loop: Header=BB26_25 Depth=2
	s_or_b64 exec, exec, s[26:27]
	s_mov_b64 s[26:27], -1
	s_and_saveexec_b64 s[28:29], s[2:3]
	s_cbranch_execz .LBB26_24
; %bb.33:                               ;   in Loop: Header=BB26_25 Depth=2
	v_add_u32_e32 v16, 32, v16
	v_cmp_ge_i32_e32 vcc, v16, v35
	v_add_u32_e32 v18, 0x120, v18
	s_orn2_b64 s[26:27], vcc, exec
	s_branch .LBB26_24
.LBB26_34:                              ;   in Loop: Header=BB26_9 Depth=1
	s_or_b64 exec, exec, s[24:25]
.LBB26_35:                              ;   in Loop: Header=BB26_9 Depth=1
	s_or_b64 exec, exec, s[8:9]
	s_waitcnt lgkmcnt(0)
	ds_read_u8 v0, v53
	s_waitcnt lgkmcnt(0)
	v_and_b32_e32 v6, 1, v0
	v_cmp_eq_u32_e64 s[2:3], 1, v6
	v_cmp_ne_u16_e32 vcc, 0, v0
	s_and_saveexec_b64 s[8:9], s[2:3]
	s_cbranch_execz .LBB26_8
; %bb.36:                               ;   in Loop: Header=BB26_9 Depth=1
	v_and_b32_e32 v0, vcc_lo, v38
	ds_read2_b64 v[6:9], v37 offset1:1
	v_bcnt_u32_b32 v0, v0, 0
	v_add3_u32 v18, v36, v0, -1
	v_ashrrev_i32_e32 v19, 31, v18
	v_lshl_add_u32 v0, v18, 3, v18
	v_add_u32_e32 v15, v39, v55
	v_lshl_add_u64 v[20:21], v[18:19], 2, s[20:21]
	v_lshl_add_u64 v[22:23], v[0:1], 4, s[22:23]
	global_store_dword v[20:21], v15, off
	ds_read2_b64 v[18:21], v41 offset1:1
	s_waitcnt lgkmcnt(1)
	global_store_dwordx4 v[22:23], v[6:9], off
	s_nop 1
	v_add_u32_e32 v6, 1, v0
	v_mov_b32_e32 v7, v1
	v_lshl_add_u64 v[30:31], v[6:7], 4, s[22:23]
	v_add_u32_e32 v6, 2, v0
	v_lshl_add_u64 v[62:63], v[6:7], 4, s[22:23]
	v_add_u32_e32 v6, 3, v0
	v_lshl_add_u64 v[64:65], v[6:7], 4, s[22:23]
	v_add_u32_e32 v6, 4, v0
	v_lshl_add_u64 v[66:67], v[6:7], 4, s[22:23]
	v_add_u32_e32 v6, 5, v0
	v_lshl_add_u64 v[68:69], v[6:7], 4, s[22:23]
	v_add_u32_e32 v6, 6, v0
	v_lshl_add_u64 v[70:71], v[6:7], 4, s[22:23]
	v_add_u32_e32 v6, 7, v0
	v_lshl_add_u64 v[72:73], v[6:7], 4, s[22:23]
	ds_read2_b64 v[6:9], v47 offset1:1
	ds_read2_b64 v[22:25], v48 offset1:1
	;; [unrolled: 1-line block ×3, first 2 shown]
	s_waitcnt lgkmcnt(2)
	global_store_dwordx4 v[30:31], v[6:9], off
	s_waitcnt lgkmcnt(1)
	global_store_dwordx4 v[62:63], v[22:25], off
	;; [unrolled: 2-line block ×3, first 2 shown]
	ds_read2_b64 v[6:9], v50 offset1:1
	ds_read2_b64 v[22:25], v51 offset1:1
	;; [unrolled: 1-line block ×4, first 2 shown]
	v_add_u32_e32 v0, 8, v0
	v_lshl_add_u64 v[74:75], v[0:1], 4, s[22:23]
	global_store_dwordx4 v[66:67], v[18:21], off
	s_waitcnt lgkmcnt(3)
	global_store_dwordx4 v[68:69], v[6:9], off
	s_waitcnt lgkmcnt(2)
	global_store_dwordx4 v[70:71], v[22:25], off
	s_waitcnt lgkmcnt(1)
	global_store_dwordx4 v[72:73], v[26:29], off
	s_waitcnt lgkmcnt(0)
	global_store_dwordx4 v[74:75], v[62:65], off
	s_branch .LBB26_8
.LBB26_37:
	s_endpgm
	.section	.rodata,"a",@progbits
	.p2align	6, 0x0
	.amdhsa_kernel _ZN9rocsparseL39bsrgeam_wf_per_row_multipass_2_3_kernelILj256ELj3ELj32E21rocsparse_complex_numIdEEEv20rocsparse_direction_iiiNS_24const_host_device_scalarIT2_EEPKiS8_PKS5_S6_S8_S8_SA_S8_PiPS5_21rocsparse_index_base_SD_SD_b
		.amdhsa_group_segment_fixed_size 37120
		.amdhsa_private_segment_fixed_size 16
		.amdhsa_kernarg_size 136
		.amdhsa_user_sgpr_count 2
		.amdhsa_user_sgpr_dispatch_ptr 0
		.amdhsa_user_sgpr_queue_ptr 0
		.amdhsa_user_sgpr_kernarg_segment_ptr 1
		.amdhsa_user_sgpr_dispatch_id 0
		.amdhsa_user_sgpr_kernarg_preload_length 0
		.amdhsa_user_sgpr_kernarg_preload_offset 0
		.amdhsa_user_sgpr_private_segment_size 0
		.amdhsa_uses_dynamic_stack 0
		.amdhsa_enable_private_segment 1
		.amdhsa_system_sgpr_workgroup_id_x 1
		.amdhsa_system_sgpr_workgroup_id_y 0
		.amdhsa_system_sgpr_workgroup_id_z 0
		.amdhsa_system_sgpr_workgroup_info 0
		.amdhsa_system_vgpr_workitem_id 0
		.amdhsa_next_free_vgpr 126
		.amdhsa_next_free_sgpr 96
		.amdhsa_accum_offset 128
		.amdhsa_reserve_vcc 1
		.amdhsa_float_round_mode_32 0
		.amdhsa_float_round_mode_16_64 0
		.amdhsa_float_denorm_mode_32 3
		.amdhsa_float_denorm_mode_16_64 3
		.amdhsa_dx10_clamp 1
		.amdhsa_ieee_mode 1
		.amdhsa_fp16_overflow 0
		.amdhsa_tg_split 0
		.amdhsa_exception_fp_ieee_invalid_op 0
		.amdhsa_exception_fp_denorm_src 0
		.amdhsa_exception_fp_ieee_div_zero 0
		.amdhsa_exception_fp_ieee_overflow 0
		.amdhsa_exception_fp_ieee_underflow 0
		.amdhsa_exception_fp_ieee_inexact 0
		.amdhsa_exception_int_div_zero 0
	.end_amdhsa_kernel
	.section	.text._ZN9rocsparseL39bsrgeam_wf_per_row_multipass_2_3_kernelILj256ELj3ELj32E21rocsparse_complex_numIdEEEv20rocsparse_direction_iiiNS_24const_host_device_scalarIT2_EEPKiS8_PKS5_S6_S8_S8_SA_S8_PiPS5_21rocsparse_index_base_SD_SD_b,"axG",@progbits,_ZN9rocsparseL39bsrgeam_wf_per_row_multipass_2_3_kernelILj256ELj3ELj32E21rocsparse_complex_numIdEEEv20rocsparse_direction_iiiNS_24const_host_device_scalarIT2_EEPKiS8_PKS5_S6_S8_S8_SA_S8_PiPS5_21rocsparse_index_base_SD_SD_b,comdat
.Lfunc_end26:
	.size	_ZN9rocsparseL39bsrgeam_wf_per_row_multipass_2_3_kernelILj256ELj3ELj32E21rocsparse_complex_numIdEEEv20rocsparse_direction_iiiNS_24const_host_device_scalarIT2_EEPKiS8_PKS5_S6_S8_S8_SA_S8_PiPS5_21rocsparse_index_base_SD_SD_b, .Lfunc_end26-_ZN9rocsparseL39bsrgeam_wf_per_row_multipass_2_3_kernelILj256ELj3ELj32E21rocsparse_complex_numIdEEEv20rocsparse_direction_iiiNS_24const_host_device_scalarIT2_EEPKiS8_PKS5_S6_S8_S8_SA_S8_PiPS5_21rocsparse_index_base_SD_SD_b
                                        ; -- End function
	.set _ZN9rocsparseL39bsrgeam_wf_per_row_multipass_2_3_kernelILj256ELj3ELj32E21rocsparse_complex_numIdEEEv20rocsparse_direction_iiiNS_24const_host_device_scalarIT2_EEPKiS8_PKS5_S6_S8_S8_SA_S8_PiPS5_21rocsparse_index_base_SD_SD_b.num_vgpr, 126
	.set _ZN9rocsparseL39bsrgeam_wf_per_row_multipass_2_3_kernelILj256ELj3ELj32E21rocsparse_complex_numIdEEEv20rocsparse_direction_iiiNS_24const_host_device_scalarIT2_EEPKiS8_PKS5_S6_S8_S8_SA_S8_PiPS5_21rocsparse_index_base_SD_SD_b.num_agpr, 0
	.set _ZN9rocsparseL39bsrgeam_wf_per_row_multipass_2_3_kernelILj256ELj3ELj32E21rocsparse_complex_numIdEEEv20rocsparse_direction_iiiNS_24const_host_device_scalarIT2_EEPKiS8_PKS5_S6_S8_S8_SA_S8_PiPS5_21rocsparse_index_base_SD_SD_b.numbered_sgpr, 30
	.set _ZN9rocsparseL39bsrgeam_wf_per_row_multipass_2_3_kernelILj256ELj3ELj32E21rocsparse_complex_numIdEEEv20rocsparse_direction_iiiNS_24const_host_device_scalarIT2_EEPKiS8_PKS5_S6_S8_S8_SA_S8_PiPS5_21rocsparse_index_base_SD_SD_b.num_named_barrier, 0
	.set _ZN9rocsparseL39bsrgeam_wf_per_row_multipass_2_3_kernelILj256ELj3ELj32E21rocsparse_complex_numIdEEEv20rocsparse_direction_iiiNS_24const_host_device_scalarIT2_EEPKiS8_PKS5_S6_S8_S8_SA_S8_PiPS5_21rocsparse_index_base_SD_SD_b.private_seg_size, 16
	.set _ZN9rocsparseL39bsrgeam_wf_per_row_multipass_2_3_kernelILj256ELj3ELj32E21rocsparse_complex_numIdEEEv20rocsparse_direction_iiiNS_24const_host_device_scalarIT2_EEPKiS8_PKS5_S6_S8_S8_SA_S8_PiPS5_21rocsparse_index_base_SD_SD_b.uses_vcc, 1
	.set _ZN9rocsparseL39bsrgeam_wf_per_row_multipass_2_3_kernelILj256ELj3ELj32E21rocsparse_complex_numIdEEEv20rocsparse_direction_iiiNS_24const_host_device_scalarIT2_EEPKiS8_PKS5_S6_S8_S8_SA_S8_PiPS5_21rocsparse_index_base_SD_SD_b.uses_flat_scratch, 0
	.set _ZN9rocsparseL39bsrgeam_wf_per_row_multipass_2_3_kernelILj256ELj3ELj32E21rocsparse_complex_numIdEEEv20rocsparse_direction_iiiNS_24const_host_device_scalarIT2_EEPKiS8_PKS5_S6_S8_S8_SA_S8_PiPS5_21rocsparse_index_base_SD_SD_b.has_dyn_sized_stack, 0
	.set _ZN9rocsparseL39bsrgeam_wf_per_row_multipass_2_3_kernelILj256ELj3ELj32E21rocsparse_complex_numIdEEEv20rocsparse_direction_iiiNS_24const_host_device_scalarIT2_EEPKiS8_PKS5_S6_S8_S8_SA_S8_PiPS5_21rocsparse_index_base_SD_SD_b.has_recursion, 0
	.set _ZN9rocsparseL39bsrgeam_wf_per_row_multipass_2_3_kernelILj256ELj3ELj32E21rocsparse_complex_numIdEEEv20rocsparse_direction_iiiNS_24const_host_device_scalarIT2_EEPKiS8_PKS5_S6_S8_S8_SA_S8_PiPS5_21rocsparse_index_base_SD_SD_b.has_indirect_call, 0
	.section	.AMDGPU.csdata,"",@progbits
; Kernel info:
; codeLenInByte = 3748
; TotalNumSgprs: 36
; NumVgprs: 126
; NumAgprs: 0
; TotalNumVgprs: 126
; ScratchSize: 16
; MemoryBound: 0
; FloatMode: 240
; IeeeMode: 1
; LDSByteSize: 37120 bytes/workgroup (compile time only)
; SGPRBlocks: 12
; VGPRBlocks: 15
; NumSGPRsForWavesPerEU: 102
; NumVGPRsForWavesPerEU: 126
; AccumOffset: 128
; Occupancy: 4
; WaveLimiterHint : 1
; COMPUTE_PGM_RSRC2:SCRATCH_EN: 1
; COMPUTE_PGM_RSRC2:USER_SGPR: 2
; COMPUTE_PGM_RSRC2:TRAP_HANDLER: 0
; COMPUTE_PGM_RSRC2:TGID_X_EN: 1
; COMPUTE_PGM_RSRC2:TGID_Y_EN: 0
; COMPUTE_PGM_RSRC2:TGID_Z_EN: 0
; COMPUTE_PGM_RSRC2:TIDIG_COMP_CNT: 0
; COMPUTE_PGM_RSRC3_GFX90A:ACCUM_OFFSET: 31
; COMPUTE_PGM_RSRC3_GFX90A:TG_SPLIT: 0
	.section	.text._ZN9rocsparseL39bsrgeam_wf_per_row_multipass_2_3_kernelILj256ELj3ELj64E21rocsparse_complex_numIdEEEv20rocsparse_direction_iiiNS_24const_host_device_scalarIT2_EEPKiS8_PKS5_S6_S8_S8_SA_S8_PiPS5_21rocsparse_index_base_SD_SD_b,"axG",@progbits,_ZN9rocsparseL39bsrgeam_wf_per_row_multipass_2_3_kernelILj256ELj3ELj64E21rocsparse_complex_numIdEEEv20rocsparse_direction_iiiNS_24const_host_device_scalarIT2_EEPKiS8_PKS5_S6_S8_S8_SA_S8_PiPS5_21rocsparse_index_base_SD_SD_b,comdat
	.globl	_ZN9rocsparseL39bsrgeam_wf_per_row_multipass_2_3_kernelILj256ELj3ELj64E21rocsparse_complex_numIdEEEv20rocsparse_direction_iiiNS_24const_host_device_scalarIT2_EEPKiS8_PKS5_S6_S8_S8_SA_S8_PiPS5_21rocsparse_index_base_SD_SD_b ; -- Begin function _ZN9rocsparseL39bsrgeam_wf_per_row_multipass_2_3_kernelILj256ELj3ELj64E21rocsparse_complex_numIdEEEv20rocsparse_direction_iiiNS_24const_host_device_scalarIT2_EEPKiS8_PKS5_S6_S8_S8_SA_S8_PiPS5_21rocsparse_index_base_SD_SD_b
	.p2align	8
	.type	_ZN9rocsparseL39bsrgeam_wf_per_row_multipass_2_3_kernelILj256ELj3ELj64E21rocsparse_complex_numIdEEEv20rocsparse_direction_iiiNS_24const_host_device_scalarIT2_EEPKiS8_PKS5_S6_S8_S8_SA_S8_PiPS5_21rocsparse_index_base_SD_SD_b,@function
_ZN9rocsparseL39bsrgeam_wf_per_row_multipass_2_3_kernelILj256ELj3ELj64E21rocsparse_complex_numIdEEEv20rocsparse_direction_iiiNS_24const_host_device_scalarIT2_EEPKiS8_PKS5_S6_S8_S8_SA_S8_PiPS5_21rocsparse_index_base_SD_SD_b: ; @_ZN9rocsparseL39bsrgeam_wf_per_row_multipass_2_3_kernelILj256ELj3ELj64E21rocsparse_complex_numIdEEEv20rocsparse_direction_iiiNS_24const_host_device_scalarIT2_EEPKiS8_PKS5_S6_S8_S8_SA_S8_PiPS5_21rocsparse_index_base_SD_SD_b
; %bb.0:
	s_load_dwordx4 s[4:7], s[0:1], 0x78
	s_load_dwordx4 s[8:11], s[0:1], 0x10
	s_mov_b64 s[12:13], src_private_base
	s_waitcnt lgkmcnt(0)
	s_bitcmp1_b32 s7, 0
	s_cselect_b64 s[20:21], -1, 0
	s_and_b64 vcc, s[20:21], exec
	v_mov_b64_e32 v[2:3], s[8:9]
	s_cselect_b32 s3, s13, s9
	s_cselect_b32 s7, 0, s8
	scratch_store_dwordx2 off, v[2:3], off
	v_mov_b32_e32 v2, s7
	v_mov_b32_e32 v3, s3
	flat_load_dwordx2 v[10:11], v[2:3]
	v_mov_b64_e32 v[12:13], s[10:11]
	s_cbranch_vccnz .LBB27_2
; %bb.1:
	v_mov_b64_e32 v[2:3], s[8:9]
	flat_load_dwordx2 v[12:13], v[2:3] offset:8
.LBB27_2:
	s_load_dwordx4 s[8:11], s[0:1], 0x0
	s_lshl_b32 s2, s2, 2
	v_lshrrev_b32_e32 v1, 6, v0
	s_and_b32 s2, s2, 0x3fffffc
	v_or_b32_e32 v2, s2, v1
	s_waitcnt lgkmcnt(0)
	v_cmp_gt_i32_e32 vcc, s9, v2
	s_and_saveexec_b64 s[2:3], vcc
	s_cbranch_execz .LBB27_37
; %bb.3:
	s_load_dwordx4 s[12:15], s[0:1], 0x20
	s_load_dwordx2 s[2:3], s[0:1], 0x38
	s_load_dwordx2 s[22:23], s[0:1], 0x60
	s_load_dwordx4 s[16:19], s[0:1], 0x48
	s_add_u32 s7, s0, 56
	s_addc_u32 s9, s1, 0
	s_and_b64 s[20:21], s[20:21], exec
	s_waitcnt lgkmcnt(0)
	s_cselect_b32 s3, s9, s3
	s_cselect_b32 s2, s7, s2
	v_lshlrev_b32_e32 v16, 2, v2
	v_mov_b32_e32 v14, s2
	v_mov_b32_e32 v15, s3
	global_load_dwordx2 v[6:7], v16, s[12:13]
	global_load_dwordx2 v[8:9], v16, s[16:17]
	global_load_dword v18, v16, s[22:23]
	flat_load_dwordx4 v[2:5], v[14:15]
	s_waitcnt vmcnt(0)
	v_subrev_u32_e32 v14, s4, v6
	v_cmp_lt_i32_e32 vcc, v6, v7
	v_mov_b32_e32 v6, s10
	s_and_saveexec_b64 s[2:3], vcc
	s_cbranch_execz .LBB27_5
; %bb.4:
	v_ashrrev_i32_e32 v15, 31, v14
	v_lshl_add_u64 v[16:17], v[14:15], 2, s[14:15]
	global_load_dword v6, v[16:17], off
	s_waitcnt vmcnt(0)
	v_subrev_u32_e32 v6, s4, v6
.LBB27_5:
	s_or_b64 exec, exec, s[2:3]
	s_load_dwordx4 s[20:23], s[0:1], 0x68
	s_load_dwordx2 s[12:13], s[0:1], 0x58
	s_load_dwordx2 s[16:17], s[0:1], 0x30
	v_subrev_u32_e32 v16, s5, v8
	v_cmp_lt_i32_e32 vcc, v8, v9
	v_mov_b32_e32 v8, s10
	s_and_saveexec_b64 s[0:1], vcc
	s_cbranch_execz .LBB27_7
; %bb.6:
	v_ashrrev_i32_e32 v17, 31, v16
	v_lshl_add_u64 v[20:21], v[16:17], 2, s[18:19]
	global_load_dword v8, v[20:21], off
	s_waitcnt vmcnt(0)
	v_subrev_u32_e32 v8, s5, v8
.LBB27_7:
	s_or_b64 exec, exec, s[0:1]
	v_subrev_u32_e32 v36, s4, v7
	v_and_b32_e32 v7, 63, v0
	s_movk_i32 s0, 0x2400
	v_min_i32_e32 v57, v8, v6
	v_mul_u32_u24_e32 v6, 0x90, v7
	v_mul_u32_u24_e32 v35, 0x2400, v1
	v_mad_u32_u24 v39, v1, s0, v6
	v_mbcnt_lo_u32_b32 v1, -1, 0
	v_mbcnt_hi_u32_b32 v6, -1, v1
	v_and_b32_e32 v1, 64, v6
	v_subrev_u32_e32 v37, s5, v9
	v_add_u32_e32 v8, 64, v1
	v_xor_b32_e32 v9, 32, v6
	v_cmp_lt_i32_e32 vcc, v9, v8
	v_xor_b32_e32 v21, 16, v6
	s_mov_b32 s0, 0
	v_cndmask_b32_e32 v9, v6, v9, vcc
	v_cmp_lt_i32_e32 vcc, v21, v8
	s_cmp_lg_u32 s8, 0
	v_and_b32_e32 v15, 0xc0, v0
	v_cndmask_b32_e32 v21, v6, v21, vcc
	v_lshlrev_b32_e32 v44, 2, v21
	v_xor_b32_e32 v21, 8, v6
	v_cmp_lt_i32_e32 vcc, v21, v8
	s_cselect_b64 s[24:25], -1, 0
	s_cmp_eq_u32 s8, 0
	v_cndmask_b32_e32 v21, v6, v21, vcc
	v_lshlrev_b32_e32 v45, 2, v21
	v_xor_b32_e32 v21, 4, v6
	v_cmp_lt_i32_e32 vcc, v21, v8
	s_mov_b32 s2, s0
	s_mov_b32 s3, s0
	v_cndmask_b32_e32 v21, v6, v21, vcc
	v_lshlrev_b32_e32 v46, 2, v21
	v_xor_b32_e32 v21, 2, v6
	v_cmp_lt_i32_e32 vcc, v21, v8
	v_or_b32_e32 v34, 0x9000, v15
	v_subrev_u32_e32 v38, s6, v18
	v_cndmask_b32_e32 v21, v6, v21, vcc
	v_lshlrev_b32_e32 v47, 2, v21
	v_xor_b32_e32 v21, 1, v6
	v_cmp_lt_i32_e32 vcc, v21, v8
	v_bitop3_b32 v0, v0, 63, v0 bitop3:0xc
	v_lshlrev_b32_e32 v41, 2, v9
	v_cndmask_b32_e32 v6, v6, v21, vcc
	v_add_u32_e32 v9, 16, v39
	v_add_u32_e32 v15, 32, v39
	v_add_u32_e32 v17, 48, v39
	v_add_u32_e32 v18, 0x50, v39
	v_add_u32_e32 v19, 0x60, v39
	v_add_u32_e32 v20, 0x70, v39
	v_lshlrev_b32_e32 v48, 2, v6
	s_cselect_b64 vcc, -1, 0
	s_mov_b32 s1, s0
	v_mov_b64_e32 v[62:63], s[2:3]
	v_cndmask_b32_e64 v6, 0, 1, s[24:25]
	v_add_u32_e32 v14, v14, v7
	v_add_u32_e32 v16, v16, v7
	s_movk_i32 s11, 0x90
	v_lshrrev_b64 v[0:1], v0, -1
	v_add_u32_e32 v40, s6, v7
	v_add_u32_e32 v42, 64, v39
	;; [unrolled: 1-line block ×3, first 2 shown]
	v_cndmask_b32_e32 v49, v17, v9, vcc
	v_cndmask_b32_e32 v50, v19, v15, vcc
	;; [unrolled: 1-line block ×6, first 2 shown]
	s_mov_b64 s[6:7], 0
	v_add_u32_e32 v55, v34, v7
	v_mov_b32_e32 v19, 0
	v_mov_b64_e32 v[60:61], s[0:1]
	v_mov_b32_e32 v56, 1
	v_cmp_ne_u32_e64 s[0:1], 1, v6
	s_branch .LBB27_9
.LBB27_8:                               ;   in Loop: Header=BB27_9 Depth=1
	s_or_b64 exec, exec, s[8:9]
	ds_bpermute_b32 v6, v41, v58
	s_bcnt1_i32_b64 s2, vcc
	v_add_u32_e32 v38, s2, v38
	s_waitcnt lgkmcnt(0)
	v_min_i32_e32 v6, v6, v58
	ds_bpermute_b32 v7, v44, v6
	s_waitcnt lgkmcnt(0)
	v_min_i32_e32 v6, v7, v6
	ds_bpermute_b32 v7, v45, v6
	;; [unrolled: 3-line block ×5, first 2 shown]
	s_waitcnt lgkmcnt(0)
	v_min_i32_e32 v57, v7, v6
	v_cmp_le_i32_e32 vcc, s10, v57
	s_or_b64 s[6:7], vcc, s[6:7]
	s_andn2_b64 exec, exec, s[6:7]
	s_cbranch_execz .LBB27_37
.LBB27_9:                               ; =>This Loop Header: Depth=1
                                        ;     Child Loop BB27_12 Depth 2
                                        ;     Child Loop BB27_25 Depth 2
	v_cmp_lt_i32_e32 vcc, v14, v36
	v_mov_b32_e32 v58, s10
	ds_write_b8 v55, v19
	ds_write_b128 v39, v[60:63]
	ds_write_b128 v39, v[60:63] offset:16
	ds_write_b128 v39, v[60:63] offset:32
	;; [unrolled: 1-line block ×8, first 2 shown]
	s_waitcnt lgkmcnt(0)
	s_and_saveexec_b64 s[8:9], vcc
	s_cbranch_execz .LBB27_22
; %bb.10:                               ;   in Loop: Header=BB27_9 Depth=1
	v_mad_u64_u32 v[6:7], s[2:3], v14, 9, 8
	s_mov_b64 s[24:25], 0
	v_mov_b32_e32 v58, s10
	s_branch .LBB27_12
.LBB27_11:                              ;   in Loop: Header=BB27_12 Depth=2
	s_or_b64 exec, exec, s[28:29]
	s_and_b64 s[2:3], exec, s[26:27]
	s_or_b64 s[24:25], s[2:3], s[24:25]
	s_andn2_b64 exec, exec, s[24:25]
	s_cbranch_execz .LBB27_21
.LBB27_12:                              ;   Parent Loop BB27_9 Depth=1
                                        ; =>  This Inner Loop Header: Depth=2
	v_ashrrev_i32_e32 v15, 31, v14
	v_lshl_add_u64 v[8:9], v[14:15], 2, s[14:15]
	global_load_dword v7, v[8:9], off
	s_waitcnt vmcnt(0)
	v_subrev_u32_e32 v8, s4, v7
	v_sub_u32_e32 v7, v8, v57
	v_cmp_gt_u32_e64 s[2:3], 64, v7
	v_cmp_lt_u32_e32 vcc, 63, v7
	s_and_saveexec_b64 s[26:27], vcc
	s_xor_b64 s[26:27], exec, s[26:27]
; %bb.13:                               ;   in Loop: Header=BB27_12 Depth=2
	v_min_i32_e32 v58, v8, v58
                                        ; implicit-def: $vgpr7
; %bb.14:                               ;   in Loop: Header=BB27_12 Depth=2
	s_andn2_saveexec_b64 s[26:27], s[26:27]
	s_cbranch_execz .LBB27_19
; %bb.15:                               ;   in Loop: Header=BB27_12 Depth=2
	v_add_u32_e32 v18, -8, v6
	v_lshl_add_u64 v[8:9], v[18:19], 4, s[16:17]
	global_load_dwordx4 v[30:33], v[8:9], off
	v_add_u32_e32 v9, v34, v7
	v_mul_lo_u32 v7, v7, s11
	s_mov_b64 s[28:29], -1
	s_and_b64 vcc, exec, s[0:1]
	v_add_u32_e32 v20, -2, v6
	v_add_u32_e32 v28, -7, v6
	v_add_u32_e32 v24, -4, v6
	v_add_u32_e32 v8, -1, v6
	v_add_u32_e32 v26, -6, v6
	v_add_u32_e32 v15, v35, v7
	v_add_u32_e32 v18, -5, v6
	v_add_u32_e32 v22, -3, v6
	ds_write_b8 v9, v56
	s_waitcnt vmcnt(0)
	v_mul_f64 v[64:65], v[32:33], -v[12:13]
	v_mul_f64 v[66:67], v[10:11], v[32:33]
	v_fmac_f64_e32 v[64:65], v[10:11], v[30:31]
	v_fmac_f64_e32 v[66:67], v[12:13], v[30:31]
	ds_write_b128 v15, v[64:67]
	s_cbranch_vccnz .LBB27_17
; %bb.16:                               ;   in Loop: Header=BB27_12 Depth=2
	v_mov_b32_e32 v21, v19
	v_mov_b32_e32 v29, v19
	;; [unrolled: 1-line block ×4, first 2 shown]
	v_lshl_add_u64 v[68:69], v[18:19], 4, s[16:17]
	v_lshl_add_u64 v[70:71], v[20:21], 4, s[16:17]
	;; [unrolled: 1-line block ×5, first 2 shown]
	v_mov_b32_e32 v27, v19
	v_mov_b32_e32 v23, v19
	;; [unrolled: 1-line block ×3, first 2 shown]
	global_load_dwordx4 v[30:33], v[68:69], off
	global_load_dwordx4 v[64:67], v[70:71], off
	s_nop 0
	global_load_dwordx4 v[68:71], v[76:77], off
	global_load_dwordx4 v[72:75], v[78:79], off
	v_lshl_add_u64 v[86:87], v[26:27], 4, s[16:17]
	global_load_dwordx4 v[76:79], v[84:85], off
	global_load_dwordx4 v[80:83], v[86:87], off
	v_lshl_add_u64 v[84:85], v[22:23], 4, s[16:17]
	v_lshl_add_u64 v[88:89], v[6:7], 4, s[16:17]
	global_load_dwordx4 v[84:87], v[84:85], off
	s_mov_b64 s[28:29], 0
	global_load_dwordx4 v[88:91], v[88:89], off
	s_waitcnt vmcnt(7)
	v_mul_f64 v[92:93], v[32:33], -v[12:13]
	v_mul_f64 v[94:95], v[10:11], v[32:33]
	v_fmac_f64_e32 v[92:93], v[10:11], v[30:31]
	v_fmac_f64_e32 v[94:95], v[12:13], v[30:31]
	s_waitcnt vmcnt(6)
	v_mul_f64 v[30:31], v[66:67], -v[12:13]
	v_mul_f64 v[32:33], v[10:11], v[66:67]
	s_waitcnt vmcnt(5)
	v_mul_f64 v[96:97], v[70:71], -v[12:13]
	v_mul_f64 v[98:99], v[10:11], v[70:71]
	;; [unrolled: 3-line block ×7, first 2 shown]
	v_fmac_f64_e32 v[30:31], v[10:11], v[64:65]
	v_fmac_f64_e32 v[32:33], v[12:13], v[64:65]
	ds_write_b128 v15, v[92:95] offset:16
	v_fmac_f64_e32 v[96:97], v[10:11], v[68:69]
	v_fmac_f64_e32 v[98:99], v[12:13], v[68:69]
	v_fmac_f64_e32 v[100:101], v[10:11], v[72:73]
	v_fmac_f64_e32 v[102:103], v[12:13], v[72:73]
	v_fmac_f64_e32 v[104:105], v[10:11], v[76:77]
	v_fmac_f64_e32 v[106:107], v[12:13], v[76:77]
	v_fmac_f64_e32 v[108:109], v[10:11], v[80:81]
	v_fmac_f64_e32 v[110:111], v[12:13], v[80:81]
	v_fmac_f64_e32 v[112:113], v[10:11], v[84:85]
	v_fmac_f64_e32 v[114:115], v[12:13], v[84:85]
	v_fmac_f64_e32 v[116:117], v[10:11], v[88:89]
	v_fmac_f64_e32 v[118:119], v[12:13], v[88:89]
	ds_write_b128 v15, v[30:33] offset:32
	ds_write_b128 v15, v[96:99] offset:48
	;; [unrolled: 1-line block ×7, first 2 shown]
.LBB27_17:                              ;   in Loop: Header=BB27_12 Depth=2
	s_andn2_b64 vcc, exec, s[28:29]
	s_cbranch_vccnz .LBB27_19
; %bb.18:                               ;   in Loop: Header=BB27_12 Depth=2
	v_mov_b32_e32 v29, v19
	v_mov_b32_e32 v27, v19
	;; [unrolled: 1-line block ×3, first 2 shown]
	v_lshl_add_u64 v[68:69], v[28:29], 4, s[16:17]
	v_lshl_add_u64 v[70:71], v[26:27], 4, s[16:17]
	;; [unrolled: 1-line block ×4, first 2 shown]
	v_mov_b32_e32 v23, v19
	v_mov_b32_e32 v21, v19
	;; [unrolled: 1-line block ×3, first 2 shown]
	global_load_dwordx4 v[26:29], v[72:73], off
	global_load_dwordx4 v[30:33], v[68:69], off
	;; [unrolled: 1-line block ×3, first 2 shown]
	v_lshl_add_u64 v[76:77], v[20:21], 4, s[16:17]
	global_load_dwordx4 v[68:71], v[24:25], off
	v_lshl_add_u64 v[24:25], v[22:23], 4, s[16:17]
	v_lshl_add_u64 v[8:9], v[8:9], 4, s[16:17]
	v_mov_b32_e32 v7, v19
	global_load_dwordx4 v[20:23], v[24:25], off
	global_load_dwordx4 v[72:75], v[76:77], off
	s_waitcnt vmcnt(5)
	v_mul_f64 v[84:85], v[28:29], -v[12:13]
	global_load_dwordx4 v[76:79], v[8:9], off
	v_lshl_add_u64 v[8:9], v[6:7], 4, s[16:17]
	global_load_dwordx4 v[80:83], v[8:9], off
	v_mul_f64 v[86:87], v[10:11], v[28:29]
	s_waitcnt vmcnt(6)
	v_mul_f64 v[88:89], v[32:33], -v[12:13]
	v_mul_f64 v[90:91], v[10:11], v[32:33]
	s_waitcnt vmcnt(5)
	v_mul_f64 v[92:93], v[66:67], -v[12:13]
	v_mul_f64 v[94:95], v[10:11], v[66:67]
	v_fmac_f64_e32 v[84:85], v[10:11], v[26:27]
	v_fmac_f64_e32 v[86:87], v[12:13], v[26:27]
	s_waitcnt vmcnt(4)
	v_mul_f64 v[24:25], v[70:71], -v[12:13]
	v_mul_f64 v[26:27], v[10:11], v[70:71]
	s_waitcnt vmcnt(3)
	v_mul_f64 v[96:97], v[22:23], -v[12:13]
	v_mul_f64 v[98:99], v[10:11], v[22:23]
	;; [unrolled: 3-line block ×3, first 2 shown]
	v_fmac_f64_e32 v[88:89], v[10:11], v[30:31]
	v_fmac_f64_e32 v[90:91], v[12:13], v[30:31]
	;; [unrolled: 1-line block ×4, first 2 shown]
	ds_write_b128 v15, v[84:87] offset:48
	v_fmac_f64_e32 v[24:25], v[10:11], v[68:69]
	v_fmac_f64_e32 v[26:27], v[12:13], v[68:69]
	;; [unrolled: 1-line block ×6, first 2 shown]
	s_waitcnt vmcnt(1)
	v_mul_f64 v[104:105], v[78:79], -v[12:13]
	v_mul_f64 v[106:107], v[10:11], v[78:79]
	s_waitcnt vmcnt(0)
	v_mul_f64 v[108:109], v[82:83], -v[12:13]
	v_mul_f64 v[110:111], v[10:11], v[82:83]
	v_fmac_f64_e32 v[104:105], v[10:11], v[76:77]
	v_fmac_f64_e32 v[106:107], v[12:13], v[76:77]
	;; [unrolled: 1-line block ×4, first 2 shown]
	ds_write_b128 v15, v[88:91] offset:16
	ds_write_b128 v15, v[92:95] offset:32
	;; [unrolled: 1-line block ×7, first 2 shown]
.LBB27_19:                              ;   in Loop: Header=BB27_12 Depth=2
	s_or_b64 exec, exec, s[26:27]
	s_mov_b64 s[26:27], -1
	s_and_saveexec_b64 s[28:29], s[2:3]
	s_cbranch_execz .LBB27_11
; %bb.20:                               ;   in Loop: Header=BB27_12 Depth=2
	v_add_u32_e32 v14, 64, v14
	v_cmp_ge_i32_e32 vcc, v14, v36
	v_add_u32_e32 v6, 0x240, v6
	s_orn2_b64 s[26:27], vcc, exec
	s_branch .LBB27_11
.LBB27_21:                              ;   in Loop: Header=BB27_9 Depth=1
	s_or_b64 exec, exec, s[24:25]
.LBB27_22:                              ;   in Loop: Header=BB27_9 Depth=1
	s_or_b64 exec, exec, s[8:9]
	v_cmp_lt_i32_e32 vcc, v16, v37
	s_waitcnt lgkmcnt(0)
	s_and_saveexec_b64 s[8:9], vcc
	s_cbranch_execz .LBB27_35
; %bb.23:                               ;   in Loop: Header=BB27_9 Depth=1
	v_mad_u64_u32 v[20:21], s[2:3], v16, 9, 8
	s_mov_b64 s[24:25], 0
	s_branch .LBB27_25
.LBB27_24:                              ;   in Loop: Header=BB27_25 Depth=2
	s_or_b64 exec, exec, s[28:29]
	s_and_b64 s[2:3], exec, s[26:27]
	s_or_b64 s[24:25], s[2:3], s[24:25]
	s_andn2_b64 exec, exec, s[24:25]
	s_cbranch_execz .LBB27_34
.LBB27_25:                              ;   Parent Loop BB27_9 Depth=1
                                        ; =>  This Inner Loop Header: Depth=2
	v_ashrrev_i32_e32 v17, 31, v16
	s_waitcnt lgkmcnt(1)
	v_lshl_add_u64 v[6:7], v[16:17], 2, s[18:19]
	global_load_dword v6, v[6:7], off
	s_waitcnt vmcnt(0)
	v_subrev_u32_e32 v7, s5, v6
	v_sub_u32_e32 v6, v7, v57
	v_cmp_gt_u32_e64 s[2:3], 64, v6
	v_cmp_lt_u32_e32 vcc, 63, v6
	s_and_saveexec_b64 s[26:27], vcc
	s_xor_b64 s[26:27], exec, s[26:27]
; %bb.26:                               ;   in Loop: Header=BB27_25 Depth=2
	v_min_i32_e32 v58, v7, v58
                                        ; implicit-def: $vgpr6
; %bb.27:                               ;   in Loop: Header=BB27_25 Depth=2
	s_andn2_saveexec_b64 s[26:27], s[26:27]
	s_cbranch_execz .LBB27_32
; %bb.28:                               ;   in Loop: Header=BB27_25 Depth=2
	v_add_u32_e32 v18, -8, v20
	v_lshl_add_u64 v[8:9], v[18:19], 4, s[12:13]
	global_load_dwordx4 v[64:67], v[8:9], off
	v_add_u32_e32 v7, v34, v6
	v_mul_lo_u32 v6, v6, s11
	v_add_u32_e32 v15, v35, v6
	ds_read_b128 v[68:71], v15
	ds_write_b8 v7, v56
	ds_read_b128 v[6:9], v15 offset:16
	s_mov_b64 s[28:29], -1
	s_and_b64 vcc, exec, s[0:1]
	v_add_u32_e32 v24, -2, v20
	v_add_u32_e32 v32, -7, v20
	;; [unrolled: 1-line block ×7, first 2 shown]
	s_waitcnt vmcnt(0) lgkmcnt(2)
	v_fmac_f64_e32 v[68:69], v[2:3], v[64:65]
	v_fmac_f64_e32 v[70:71], v[4:5], v[64:65]
	v_fma_f64 v[68:69], -v[4:5], v[66:67], v[68:69]
	v_fmac_f64_e32 v[70:71], v[2:3], v[66:67]
	ds_write_b128 v15, v[68:71]
	s_cbranch_vccnz .LBB27_30
; %bb.29:                               ;   in Loop: Header=BB27_25 Depth=2
	v_mov_b32_e32 v25, v19
	v_mov_b32_e32 v33, v19
	;; [unrolled: 1-line block ×4, first 2 shown]
	v_lshl_add_u64 v[72:73], v[18:19], 4, s[12:13]
	v_lshl_add_u64 v[74:75], v[24:25], 4, s[12:13]
	;; [unrolled: 1-line block ×5, first 2 shown]
	v_mov_b32_e32 v31, v19
	v_mov_b32_e32 v27, v19
	;; [unrolled: 1-line block ×3, first 2 shown]
	global_load_dwordx4 v[64:67], v[72:73], off
	global_load_dwordx4 v[68:71], v[74:75], off
	s_nop 0
	global_load_dwordx4 v[72:75], v[80:81], off
	global_load_dwordx4 v[76:79], v[82:83], off
	v_lshl_add_u64 v[90:91], v[30:31], 4, s[12:13]
	global_load_dwordx4 v[80:83], v[88:89], off
	global_load_dwordx4 v[84:87], v[90:91], off
	v_lshl_add_u64 v[88:89], v[26:27], 4, s[12:13]
	v_lshl_add_u64 v[92:93], v[20:21], 4, s[12:13]
	global_load_dwordx4 v[88:91], v[88:89], off
	s_mov_b64 s[28:29], 0
	global_load_dwordx4 v[92:95], v[92:93], off
	ds_read_b128 v[96:99], v15 offset:32
	ds_read_b128 v[100:103], v15 offset:48
	;; [unrolled: 1-line block ×7, first 2 shown]
	s_waitcnt vmcnt(7) lgkmcnt(8)
	v_fma_f64 v[124:125], v[2:3], v[64:65], v[6:7]
	v_fma_f64 v[126:127], v[4:5], v[64:65], v[8:9]
	s_waitcnt vmcnt(6) lgkmcnt(6)
	v_fmac_f64_e32 v[96:97], v[2:3], v[68:69]
	v_fmac_f64_e32 v[98:99], v[4:5], v[68:69]
	v_fma_f64 v[124:125], -v[4:5], v[66:67], v[124:125]
	v_fmac_f64_e32 v[126:127], v[2:3], v[66:67]
	s_waitcnt vmcnt(5) lgkmcnt(5)
	v_fmac_f64_e32 v[100:101], v[2:3], v[72:73]
	v_fmac_f64_e32 v[102:103], v[4:5], v[72:73]
	s_waitcnt vmcnt(4) lgkmcnt(4)
	v_fmac_f64_e32 v[104:105], v[2:3], v[76:77]
	;; [unrolled: 3-line block ×6, first 2 shown]
	v_fmac_f64_e32 v[122:123], v[4:5], v[92:93]
	v_fma_f64 v[96:97], -v[4:5], v[70:71], v[96:97]
	v_fmac_f64_e32 v[98:99], v[2:3], v[70:71]
	ds_write_b128 v15, v[124:127] offset:16
	v_fma_f64 v[100:101], -v[4:5], v[74:75], v[100:101]
	v_fmac_f64_e32 v[102:103], v[2:3], v[74:75]
	v_fma_f64 v[104:105], -v[4:5], v[78:79], v[104:105]
	v_fmac_f64_e32 v[106:107], v[2:3], v[78:79]
	;; [unrolled: 2-line block ×6, first 2 shown]
	ds_write_b128 v15, v[96:99] offset:32
	ds_write_b128 v15, v[100:103] offset:48
	;; [unrolled: 1-line block ×7, first 2 shown]
.LBB27_30:                              ;   in Loop: Header=BB27_25 Depth=2
	s_andn2_b64 vcc, exec, s[28:29]
	s_cbranch_vccnz .LBB27_32
; %bb.31:                               ;   in Loop: Header=BB27_25 Depth=2
	v_mov_b32_e32 v33, v19
	v_mov_b32_e32 v31, v19
	;; [unrolled: 1-line block ×3, first 2 shown]
	v_lshl_add_u64 v[72:73], v[32:33], 4, s[12:13]
	v_lshl_add_u64 v[74:75], v[30:31], 4, s[12:13]
	;; [unrolled: 1-line block ×4, first 2 shown]
	v_mov_b32_e32 v27, v19
	v_mov_b32_e32 v25, v19
	;; [unrolled: 1-line block ×3, first 2 shown]
	global_load_dwordx4 v[30:33], v[76:77], off
	global_load_dwordx4 v[64:67], v[72:73], off
	;; [unrolled: 1-line block ×3, first 2 shown]
	v_lshl_add_u64 v[80:81], v[24:25], 4, s[12:13]
	global_load_dwordx4 v[72:75], v[28:29], off
	v_lshl_add_u64 v[28:29], v[26:27], 4, s[12:13]
	v_lshl_add_u64 v[22:23], v[22:23], 4, s[12:13]
	v_mov_b32_e32 v21, v19
	global_load_dwordx4 v[24:27], v[28:29], off
	global_load_dwordx4 v[76:79], v[80:81], off
	s_waitcnt vmcnt(4) lgkmcnt(1)
	v_fmac_f64_e32 v[6:7], v[2:3], v[64:65]
	global_load_dwordx4 v[80:83], v[22:23], off
	v_lshl_add_u64 v[22:23], v[20:21], 4, s[12:13]
	global_load_dwordx4 v[84:87], v[22:23], off
	ds_read_b128 v[88:91], v15 offset:32
	ds_read_b128 v[92:95], v15 offset:48
	;; [unrolled: 1-line block ×7, first 2 shown]
	s_waitcnt lgkmcnt(5)
	v_fmac_f64_e32 v[92:93], v[2:3], v[30:31]
	v_fmac_f64_e32 v[94:95], v[4:5], v[30:31]
	;; [unrolled: 1-line block ×3, first 2 shown]
	s_waitcnt vmcnt(5)
	v_fmac_f64_e32 v[88:89], v[2:3], v[68:69]
	v_fmac_f64_e32 v[90:91], v[4:5], v[68:69]
	v_fma_f64 v[92:93], -v[4:5], v[32:33], v[92:93]
	v_fmac_f64_e32 v[94:95], v[2:3], v[32:33]
	s_waitcnt vmcnt(4) lgkmcnt(4)
	v_fmac_f64_e32 v[96:97], v[2:3], v[72:73]
	v_fmac_f64_e32 v[98:99], v[4:5], v[72:73]
	s_waitcnt vmcnt(3) lgkmcnt(3)
	v_fmac_f64_e32 v[100:101], v[2:3], v[24:25]
	;; [unrolled: 3-line block ×3, first 2 shown]
	v_fmac_f64_e32 v[106:107], v[4:5], v[76:77]
	v_fma_f64 v[6:7], -v[4:5], v[66:67], v[6:7]
	v_fmac_f64_e32 v[8:9], v[2:3], v[66:67]
	v_fma_f64 v[88:89], -v[4:5], v[70:71], v[88:89]
	v_fmac_f64_e32 v[90:91], v[2:3], v[70:71]
	ds_write_b128 v15, v[92:95] offset:48
	v_fma_f64 v[96:97], -v[4:5], v[74:75], v[96:97]
	v_fmac_f64_e32 v[98:99], v[2:3], v[74:75]
	v_fma_f64 v[100:101], -v[4:5], v[26:27], v[100:101]
	v_fmac_f64_e32 v[102:103], v[2:3], v[26:27]
	;; [unrolled: 2-line block ×3, first 2 shown]
	s_waitcnt vmcnt(1) lgkmcnt(2)
	v_fmac_f64_e32 v[108:109], v[2:3], v[80:81]
	v_fmac_f64_e32 v[110:111], v[4:5], v[80:81]
	s_waitcnt vmcnt(0) lgkmcnt(1)
	v_fmac_f64_e32 v[112:113], v[2:3], v[84:85]
	v_fmac_f64_e32 v[114:115], v[4:5], v[84:85]
	v_fma_f64 v[108:109], -v[4:5], v[82:83], v[108:109]
	v_fmac_f64_e32 v[110:111], v[2:3], v[82:83]
	v_fma_f64 v[112:113], -v[4:5], v[86:87], v[112:113]
	v_fmac_f64_e32 v[114:115], v[2:3], v[86:87]
	ds_write_b128 v15, v[6:9] offset:16
	ds_write_b128 v15, v[88:91] offset:32
	;; [unrolled: 1-line block ×7, first 2 shown]
.LBB27_32:                              ;   in Loop: Header=BB27_25 Depth=2
	s_or_b64 exec, exec, s[26:27]
	s_mov_b64 s[26:27], -1
	s_and_saveexec_b64 s[28:29], s[2:3]
	s_cbranch_execz .LBB27_24
; %bb.33:                               ;   in Loop: Header=BB27_25 Depth=2
	v_add_u32_e32 v16, 64, v16
	v_cmp_ge_i32_e32 vcc, v16, v37
	v_add_u32_e32 v20, 0x240, v20
	s_orn2_b64 s[26:27], vcc, exec
	s_branch .LBB27_24
.LBB27_34:                              ;   in Loop: Header=BB27_9 Depth=1
	s_or_b64 exec, exec, s[24:25]
.LBB27_35:                              ;   in Loop: Header=BB27_9 Depth=1
	s_or_b64 exec, exec, s[8:9]
	s_waitcnt lgkmcnt(0)
	ds_read_u8 v6, v55
	s_waitcnt lgkmcnt(0)
	v_and_b32_e32 v7, 1, v6
	v_cmp_eq_u32_e64 s[2:3], 1, v7
	v_cmp_ne_u16_e32 vcc, 0, v6
	s_and_saveexec_b64 s[8:9], s[2:3]
	s_cbranch_execz .LBB27_8
; %bb.36:                               ;   in Loop: Header=BB27_9 Depth=1
	v_and_b32_e32 v7, vcc_lo, v0
	v_and_b32_e32 v6, vcc_hi, v1
	v_bcnt_u32_b32 v7, v7, 0
	v_bcnt_u32_b32 v6, v6, v7
	v_add3_u32 v20, v38, v6, -1
	ds_read2_b64 v[6:9], v39 offset1:1
	v_ashrrev_i32_e32 v21, 31, v20
	v_lshl_add_u32 v18, v20, 3, v20
	v_add_u32_e32 v15, v40, v57
	v_lshl_add_u64 v[22:23], v[20:21], 2, s[20:21]
	v_lshl_add_u64 v[24:25], v[18:19], 4, s[22:23]
	global_store_dword v[22:23], v15, off
	ds_read2_b64 v[20:23], v42 offset1:1
	s_waitcnt lgkmcnt(1)
	global_store_dwordx4 v[24:25], v[6:9], off
	s_nop 1
	v_add_u32_e32 v6, 1, v18
	v_mov_b32_e32 v7, v19
	v_lshl_add_u64 v[32:33], v[6:7], 4, s[22:23]
	v_add_u32_e32 v6, 2, v18
	v_lshl_add_u64 v[64:65], v[6:7], 4, s[22:23]
	v_add_u32_e32 v6, 3, v18
	;; [unrolled: 2-line block ×6, first 2 shown]
	v_lshl_add_u64 v[74:75], v[6:7], 4, s[22:23]
	ds_read2_b64 v[6:9], v49 offset1:1
	ds_read2_b64 v[24:27], v50 offset1:1
	;; [unrolled: 1-line block ×3, first 2 shown]
	s_waitcnt lgkmcnt(2)
	global_store_dwordx4 v[32:33], v[6:9], off
	s_waitcnt lgkmcnt(1)
	global_store_dwordx4 v[64:65], v[24:27], off
	;; [unrolled: 2-line block ×3, first 2 shown]
	ds_read2_b64 v[6:9], v52 offset1:1
	ds_read2_b64 v[24:27], v53 offset1:1
	ds_read2_b64 v[28:31], v54 offset1:1
	ds_read2_b64 v[64:67], v43 offset1:1
	v_add_u32_e32 v18, 8, v18
	v_lshl_add_u64 v[76:77], v[18:19], 4, s[22:23]
	global_store_dwordx4 v[68:69], v[20:23], off
	s_waitcnt lgkmcnt(3)
	global_store_dwordx4 v[70:71], v[6:9], off
	s_waitcnt lgkmcnt(2)
	;; [unrolled: 2-line block ×4, first 2 shown]
	global_store_dwordx4 v[76:77], v[64:67], off
	s_branch .LBB27_8
.LBB27_37:
	s_endpgm
	.section	.rodata,"a",@progbits
	.p2align	6, 0x0
	.amdhsa_kernel _ZN9rocsparseL39bsrgeam_wf_per_row_multipass_2_3_kernelILj256ELj3ELj64E21rocsparse_complex_numIdEEEv20rocsparse_direction_iiiNS_24const_host_device_scalarIT2_EEPKiS8_PKS5_S6_S8_S8_SA_S8_PiPS5_21rocsparse_index_base_SD_SD_b
		.amdhsa_group_segment_fixed_size 37120
		.amdhsa_private_segment_fixed_size 16
		.amdhsa_kernarg_size 136
		.amdhsa_user_sgpr_count 2
		.amdhsa_user_sgpr_dispatch_ptr 0
		.amdhsa_user_sgpr_queue_ptr 0
		.amdhsa_user_sgpr_kernarg_segment_ptr 1
		.amdhsa_user_sgpr_dispatch_id 0
		.amdhsa_user_sgpr_kernarg_preload_length 0
		.amdhsa_user_sgpr_kernarg_preload_offset 0
		.amdhsa_user_sgpr_private_segment_size 0
		.amdhsa_uses_dynamic_stack 0
		.amdhsa_enable_private_segment 1
		.amdhsa_system_sgpr_workgroup_id_x 1
		.amdhsa_system_sgpr_workgroup_id_y 0
		.amdhsa_system_sgpr_workgroup_id_z 0
		.amdhsa_system_sgpr_workgroup_info 0
		.amdhsa_system_vgpr_workitem_id 0
		.amdhsa_next_free_vgpr 128
		.amdhsa_next_free_sgpr 96
		.amdhsa_accum_offset 128
		.amdhsa_reserve_vcc 1
		.amdhsa_float_round_mode_32 0
		.amdhsa_float_round_mode_16_64 0
		.amdhsa_float_denorm_mode_32 3
		.amdhsa_float_denorm_mode_16_64 3
		.amdhsa_dx10_clamp 1
		.amdhsa_ieee_mode 1
		.amdhsa_fp16_overflow 0
		.amdhsa_tg_split 0
		.amdhsa_exception_fp_ieee_invalid_op 0
		.amdhsa_exception_fp_denorm_src 0
		.amdhsa_exception_fp_ieee_div_zero 0
		.amdhsa_exception_fp_ieee_overflow 0
		.amdhsa_exception_fp_ieee_underflow 0
		.amdhsa_exception_fp_ieee_inexact 0
		.amdhsa_exception_int_div_zero 0
	.end_amdhsa_kernel
	.section	.text._ZN9rocsparseL39bsrgeam_wf_per_row_multipass_2_3_kernelILj256ELj3ELj64E21rocsparse_complex_numIdEEEv20rocsparse_direction_iiiNS_24const_host_device_scalarIT2_EEPKiS8_PKS5_S6_S8_S8_SA_S8_PiPS5_21rocsparse_index_base_SD_SD_b,"axG",@progbits,_ZN9rocsparseL39bsrgeam_wf_per_row_multipass_2_3_kernelILj256ELj3ELj64E21rocsparse_complex_numIdEEEv20rocsparse_direction_iiiNS_24const_host_device_scalarIT2_EEPKiS8_PKS5_S6_S8_S8_SA_S8_PiPS5_21rocsparse_index_base_SD_SD_b,comdat
.Lfunc_end27:
	.size	_ZN9rocsparseL39bsrgeam_wf_per_row_multipass_2_3_kernelILj256ELj3ELj64E21rocsparse_complex_numIdEEEv20rocsparse_direction_iiiNS_24const_host_device_scalarIT2_EEPKiS8_PKS5_S6_S8_S8_SA_S8_PiPS5_21rocsparse_index_base_SD_SD_b, .Lfunc_end27-_ZN9rocsparseL39bsrgeam_wf_per_row_multipass_2_3_kernelILj256ELj3ELj64E21rocsparse_complex_numIdEEEv20rocsparse_direction_iiiNS_24const_host_device_scalarIT2_EEPKiS8_PKS5_S6_S8_S8_SA_S8_PiPS5_21rocsparse_index_base_SD_SD_b
                                        ; -- End function
	.set _ZN9rocsparseL39bsrgeam_wf_per_row_multipass_2_3_kernelILj256ELj3ELj64E21rocsparse_complex_numIdEEEv20rocsparse_direction_iiiNS_24const_host_device_scalarIT2_EEPKiS8_PKS5_S6_S8_S8_SA_S8_PiPS5_21rocsparse_index_base_SD_SD_b.num_vgpr, 128
	.set _ZN9rocsparseL39bsrgeam_wf_per_row_multipass_2_3_kernelILj256ELj3ELj64E21rocsparse_complex_numIdEEEv20rocsparse_direction_iiiNS_24const_host_device_scalarIT2_EEPKiS8_PKS5_S6_S8_S8_SA_S8_PiPS5_21rocsparse_index_base_SD_SD_b.num_agpr, 0
	.set _ZN9rocsparseL39bsrgeam_wf_per_row_multipass_2_3_kernelILj256ELj3ELj64E21rocsparse_complex_numIdEEEv20rocsparse_direction_iiiNS_24const_host_device_scalarIT2_EEPKiS8_PKS5_S6_S8_S8_SA_S8_PiPS5_21rocsparse_index_base_SD_SD_b.numbered_sgpr, 30
	.set _ZN9rocsparseL39bsrgeam_wf_per_row_multipass_2_3_kernelILj256ELj3ELj64E21rocsparse_complex_numIdEEEv20rocsparse_direction_iiiNS_24const_host_device_scalarIT2_EEPKiS8_PKS5_S6_S8_S8_SA_S8_PiPS5_21rocsparse_index_base_SD_SD_b.num_named_barrier, 0
	.set _ZN9rocsparseL39bsrgeam_wf_per_row_multipass_2_3_kernelILj256ELj3ELj64E21rocsparse_complex_numIdEEEv20rocsparse_direction_iiiNS_24const_host_device_scalarIT2_EEPKiS8_PKS5_S6_S8_S8_SA_S8_PiPS5_21rocsparse_index_base_SD_SD_b.private_seg_size, 16
	.set _ZN9rocsparseL39bsrgeam_wf_per_row_multipass_2_3_kernelILj256ELj3ELj64E21rocsparse_complex_numIdEEEv20rocsparse_direction_iiiNS_24const_host_device_scalarIT2_EEPKiS8_PKS5_S6_S8_S8_SA_S8_PiPS5_21rocsparse_index_base_SD_SD_b.uses_vcc, 1
	.set _ZN9rocsparseL39bsrgeam_wf_per_row_multipass_2_3_kernelILj256ELj3ELj64E21rocsparse_complex_numIdEEEv20rocsparse_direction_iiiNS_24const_host_device_scalarIT2_EEPKiS8_PKS5_S6_S8_S8_SA_S8_PiPS5_21rocsparse_index_base_SD_SD_b.uses_flat_scratch, 0
	.set _ZN9rocsparseL39bsrgeam_wf_per_row_multipass_2_3_kernelILj256ELj3ELj64E21rocsparse_complex_numIdEEEv20rocsparse_direction_iiiNS_24const_host_device_scalarIT2_EEPKiS8_PKS5_S6_S8_S8_SA_S8_PiPS5_21rocsparse_index_base_SD_SD_b.has_dyn_sized_stack, 0
	.set _ZN9rocsparseL39bsrgeam_wf_per_row_multipass_2_3_kernelILj256ELj3ELj64E21rocsparse_complex_numIdEEEv20rocsparse_direction_iiiNS_24const_host_device_scalarIT2_EEPKiS8_PKS5_S6_S8_S8_SA_S8_PiPS5_21rocsparse_index_base_SD_SD_b.has_recursion, 0
	.set _ZN9rocsparseL39bsrgeam_wf_per_row_multipass_2_3_kernelILj256ELj3ELj64E21rocsparse_complex_numIdEEEv20rocsparse_direction_iiiNS_24const_host_device_scalarIT2_EEPKiS8_PKS5_S6_S8_S8_SA_S8_PiPS5_21rocsparse_index_base_SD_SD_b.has_indirect_call, 0
	.section	.AMDGPU.csdata,"",@progbits
; Kernel info:
; codeLenInByte = 3792
; TotalNumSgprs: 36
; NumVgprs: 128
; NumAgprs: 0
; TotalNumVgprs: 128
; ScratchSize: 16
; MemoryBound: 0
; FloatMode: 240
; IeeeMode: 1
; LDSByteSize: 37120 bytes/workgroup (compile time only)
; SGPRBlocks: 12
; VGPRBlocks: 15
; NumSGPRsForWavesPerEU: 102
; NumVGPRsForWavesPerEU: 128
; AccumOffset: 128
; Occupancy: 4
; WaveLimiterHint : 1
; COMPUTE_PGM_RSRC2:SCRATCH_EN: 1
; COMPUTE_PGM_RSRC2:USER_SGPR: 2
; COMPUTE_PGM_RSRC2:TRAP_HANDLER: 0
; COMPUTE_PGM_RSRC2:TGID_X_EN: 1
; COMPUTE_PGM_RSRC2:TGID_Y_EN: 0
; COMPUTE_PGM_RSRC2:TGID_Z_EN: 0
; COMPUTE_PGM_RSRC2:TIDIG_COMP_CNT: 0
; COMPUTE_PGM_RSRC3_GFX90A:ACCUM_OFFSET: 31
; COMPUTE_PGM_RSRC3_GFX90A:TG_SPLIT: 0
	.section	.text._ZN9rocsparseL35bsrgeam_wf_per_row_multipass_kernelILj64ELj4E21rocsparse_complex_numIdEEEv20rocsparse_direction_iiiNS_24const_host_device_scalarIT1_EEPKiS8_PKS5_S6_S8_S8_SA_S8_PiPS5_21rocsparse_index_base_SD_SD_b,"axG",@progbits,_ZN9rocsparseL35bsrgeam_wf_per_row_multipass_kernelILj64ELj4E21rocsparse_complex_numIdEEEv20rocsparse_direction_iiiNS_24const_host_device_scalarIT1_EEPKiS8_PKS5_S6_S8_S8_SA_S8_PiPS5_21rocsparse_index_base_SD_SD_b,comdat
	.globl	_ZN9rocsparseL35bsrgeam_wf_per_row_multipass_kernelILj64ELj4E21rocsparse_complex_numIdEEEv20rocsparse_direction_iiiNS_24const_host_device_scalarIT1_EEPKiS8_PKS5_S6_S8_S8_SA_S8_PiPS5_21rocsparse_index_base_SD_SD_b ; -- Begin function _ZN9rocsparseL35bsrgeam_wf_per_row_multipass_kernelILj64ELj4E21rocsparse_complex_numIdEEEv20rocsparse_direction_iiiNS_24const_host_device_scalarIT1_EEPKiS8_PKS5_S6_S8_S8_SA_S8_PiPS5_21rocsparse_index_base_SD_SD_b
	.p2align	8
	.type	_ZN9rocsparseL35bsrgeam_wf_per_row_multipass_kernelILj64ELj4E21rocsparse_complex_numIdEEEv20rocsparse_direction_iiiNS_24const_host_device_scalarIT1_EEPKiS8_PKS5_S6_S8_S8_SA_S8_PiPS5_21rocsparse_index_base_SD_SD_b,@function
_ZN9rocsparseL35bsrgeam_wf_per_row_multipass_kernelILj64ELj4E21rocsparse_complex_numIdEEEv20rocsparse_direction_iiiNS_24const_host_device_scalarIT1_EEPKiS8_PKS5_S6_S8_S8_SA_S8_PiPS5_21rocsparse_index_base_SD_SD_b: ; @_ZN9rocsparseL35bsrgeam_wf_per_row_multipass_kernelILj64ELj4E21rocsparse_complex_numIdEEEv20rocsparse_direction_iiiNS_24const_host_device_scalarIT1_EEPKiS8_PKS5_S6_S8_S8_SA_S8_PiPS5_21rocsparse_index_base_SD_SD_b
; %bb.0:
	s_load_dwordx4 s[8:11], s[0:1], 0x78
	s_load_dwordx4 s[4:7], s[0:1], 0x10
	s_load_dwordx2 s[16:17], s[0:1], 0x20
	s_mov_b64 s[14:15], src_private_base
	s_waitcnt lgkmcnt(0)
	s_bitcmp1_b32 s11, 0
	s_cselect_b64 s[12:13], -1, 0
	s_and_b64 vcc, s[12:13], exec
	v_mov_b64_e32 v[2:3], s[4:5]
	s_cselect_b32 s3, s15, s5
	s_cselect_b32 s11, 0, s4
	scratch_store_dwordx2 off, v[2:3], off
	v_mov_b32_e32 v2, s11
	v_mov_b32_e32 v3, s3
	flat_load_dwordx2 v[10:11], v[2:3]
	v_mov_b64_e32 v[12:13], s[6:7]
	s_cbranch_vccnz .LBB28_2
; %bb.1:
	v_mov_b64_e32 v[2:3], s[4:5]
	flat_load_dwordx2 v[12:13], v[2:3] offset:8
.LBB28_2:
	s_load_dwordx2 s[4:5], s[0:1], 0x38
	s_add_u32 s3, s0, 56
	s_addc_u32 s11, s1, 0
	s_and_b64 s[6:7], s[12:13], exec
	s_load_dwordx4 s[12:15], s[0:1], 0x0
	s_waitcnt lgkmcnt(0)
	s_cselect_b32 s5, s11, s5
	s_cselect_b32 s3, s3, s4
	v_mov_b32_e32 v2, s3
	v_mov_b32_e32 v3, s5
	flat_load_dwordx4 v[2:5], v[2:3]
	v_lshrrev_b32_e32 v8, 4, v0
	v_lshl_or_b32 v6, s2, 2, v8
	v_cmp_le_i32_e32 vcc, s13, v6
	v_cmp_gt_i32_e64 s[2:3], s13, v6
	v_mov_b32_e32 v1, 0
	v_ashrrev_i32_e32 v7, 31, v6
	v_mov_b32_e32 v14, 0
	s_and_saveexec_b64 s[4:5], s[2:3]
	s_cbranch_execz .LBB28_4
; %bb.3:
	v_lshl_add_u64 v[14:15], v[6:7], 2, s[16:17]
	global_load_dword v9, v[14:15], off
	s_waitcnt vmcnt(0)
	v_subrev_u32_e32 v14, s8, v9
.LBB28_4:
	s_or_b64 exec, exec, s[4:5]
	s_load_dwordx2 s[4:5], s[0:1], 0x48
	s_and_saveexec_b64 s[6:7], s[2:3]
	s_cbranch_execz .LBB28_6
; %bb.5:
	v_lshl_add_u64 v[16:17], v[6:7], 2, s[16:17]
	global_load_dword v1, v[16:17], off offset:4
	s_waitcnt vmcnt(0)
	v_subrev_u32_e32 v1, s8, v1
.LBB28_6:
	s_or_b64 exec, exec, s[6:7]
	v_mov_b32_e32 v21, 0
	v_mov_b32_e32 v16, 0
	s_and_saveexec_b64 s[6:7], s[2:3]
	s_cbranch_execz .LBB28_8
; %bb.7:
	s_waitcnt lgkmcnt(0)
	v_lshl_add_u64 v[16:17], v[6:7], 2, s[4:5]
	global_load_dword v9, v[16:17], off
	s_waitcnt vmcnt(0)
	v_subrev_u32_e32 v16, s9, v9
.LBB28_8:
	s_or_b64 exec, exec, s[6:7]
	s_and_saveexec_b64 s[6:7], s[2:3]
	s_cbranch_execz .LBB28_10
; %bb.9:
	s_waitcnt lgkmcnt(0)
	v_lshl_add_u64 v[18:19], v[6:7], 2, s[4:5]
	global_load_dword v9, v[18:19], off offset:4
	s_waitcnt vmcnt(0)
	v_subrev_u32_e32 v21, s9, v9
.LBB28_10:
	s_or_b64 exec, exec, s[6:7]
	s_load_dwordx2 s[20:21], s[0:1], 0x28
	v_mov_b32_e32 v18, 0
	s_waitcnt lgkmcnt(0)
	s_and_saveexec_b64 s[4:5], s[2:3]
	s_cbranch_execz .LBB28_12
; %bb.11:
	s_load_dwordx2 s[2:3], s[0:1], 0x60
	s_waitcnt lgkmcnt(0)
	v_lshl_add_u64 v[6:7], v[6:7], 2, s[2:3]
	global_load_dword v6, v[6:7], off
	s_waitcnt vmcnt(0)
	v_subrev_u32_e32 v18, s10, v6
.LBB28_12:
	s_or_b64 exec, exec, s[4:5]
	s_load_dwordx2 s[22:23], s[0:1], 0x50
	v_cmp_lt_i32_e64 s[2:3], v14, v1
	v_mov_b32_e32 v7, s14
	s_and_saveexec_b64 s[4:5], s[2:3]
	s_cbranch_execz .LBB28_14
; %bb.13:
	v_ashrrev_i32_e32 v15, 31, v14
	v_lshl_add_u64 v[6:7], v[14:15], 2, s[20:21]
	global_load_dword v6, v[6:7], off
	s_waitcnt vmcnt(0)
	v_subrev_u32_e32 v7, s8, v6
.LBB28_14:
	s_or_b64 exec, exec, s[4:5]
	v_cmp_lt_i32_e64 s[2:3], v16, v21
	v_mov_b32_e32 v9, s14
	s_and_saveexec_b64 s[4:5], s[2:3]
	s_cbranch_execz .LBB28_16
; %bb.15:
	v_ashrrev_i32_e32 v17, 31, v16
	s_waitcnt lgkmcnt(0)
	v_lshl_add_u64 v[22:23], v[16:17], 2, s[22:23]
	global_load_dword v6, v[22:23], off
	s_waitcnt vmcnt(0)
	v_subrev_u32_e32 v9, s9, v6
.LBB28_16:
	s_or_b64 exec, exec, s[4:5]
	v_cndmask_b32_e64 v6, 0, 1, vcc
	v_lshlrev_b32_e32 v15, 2, v8
	ds_write_b32 v15, v6 offset:1024
	v_mov_b32_e32 v6, 0
	s_waitcnt lgkmcnt(0)
	; wave barrier
	ds_read_b32 v17, v6 offset:1024
	s_waitcnt lgkmcnt(0)
	v_cmp_lt_u32_e32 vcc, 3, v17
	s_cbranch_vccnz .LBB28_56
; %bb.17:
	v_and_b32_e32 v20, 3, v0
	v_bfe_u32 v22, v0, 2, 2
	v_min_i32_e32 v19, v9, v7
	v_mov_b32_e32 v7, 0x410
	s_load_dwordx4 s[16:19], s[0:1], 0x68
	s_load_dwordx2 s[24:25], s[0:1], 0x58
	s_load_dwordx2 s[26:27], s[0:1], 0x30
	v_lshl_or_b32 v25, v8, 2, v7
	v_max_i32_e32 v7, v22, v20
	v_cmp_gt_i32_e64 s[0:1], s15, v7
	v_and_b32_e32 v7, 48, v0
	s_cmp_lg_u32 s12, 0
	v_lshlrev_b32_e32 v7, 4, v7
	v_lshlrev_b32_e32 v8, 6, v22
	v_lshlrev_b32_e32 v9, 4, v20
	s_cselect_b64 s[28:29], -1, 0
	s_cmp_eq_u32 s12, 0
	v_or3_b32 v33, v7, v8, v9
	v_lshlrev_b32_e32 v8, 6, v20
	v_lshlrev_b32_e32 v9, 4, v22
	v_or3_b32 v34, v7, v8, v9
	v_mov_b32_e32 v7, 0x400
	s_cselect_b64 vcc, -1, 0
	v_or_b32_e32 v23, 0x400, v15
	v_lshlrev_b32_e32 v32, 4, v0
	v_cmp_gt_u32_e64 s[2:3], 2, v0
	v_lshl_or_b32 v35, v0, 2, v7
	v_cmp_eq_u32_e64 s[4:5], 0, v0
	v_cndmask_b32_e32 v0, v22, v20, vcc
	v_cndmask_b32_e32 v24, v20, v22, vcc
	;; [unrolled: 1-line block ×3, first 2 shown]
	s_mul_i32 s11, s15, s15
	v_mov_b32_e32 v7, v6
	v_mov_b32_e32 v8, v6
	;; [unrolled: 1-line block ×4, first 2 shown]
	s_branch .LBB28_19
.LBB28_18:                              ;   in Loop: Header=BB28_19 Depth=1
	s_or_b64 exec, exec, s[6:7]
	s_waitcnt lgkmcnt(0)
	; wave barrier
	ds_read_b32 v17, v6 offset:1024
	v_add_u32_e32 v18, 1, v18
	v_mov_b32_e32 v19, v15
	s_waitcnt lgkmcnt(0)
	v_cmp_gt_u32_e32 vcc, 4, v17
	s_cbranch_vccz .LBB28_56
.LBB28_19:                              ; =>This Loop Header: Depth=1
                                        ;     Child Loop BB28_22 Depth 2
                                        ;     Child Loop BB28_37 Depth 2
	v_cmp_lt_i32_e32 vcc, v14, v1
	v_mov_b32_e32 v15, s14
	ds_write_b32 v25, v6
	ds_write_b128 v32, v[6:9]
	s_waitcnt lgkmcnt(0)
	; wave barrier
	s_and_saveexec_b64 s[12:13], vcc
	s_cbranch_execz .LBB28_34
; %bb.20:                               ;   in Loop: Header=BB28_19 Depth=1
	v_mul_lo_u32 v15, s15, v14
	v_add_u32_e32 v17, v20, v15
	v_add_u32_e32 v15, v22, v15
	v_mad_u64_u32 v[28:29], s[6:7], s15, v15, v[20:21]
	v_ashrrev_i32_e32 v15, 31, v14
	v_mad_u64_u32 v[26:27], s[6:7], s15, v17, v[22:23]
	v_lshl_add_u64 v[30:31], v[14:15], 2, s[20:21]
	s_mov_b64 s[30:31], 0
	v_mov_b32_e32 v17, 0
	v_mov_b32_e32 v15, s14
	s_branch .LBB28_22
.LBB28_21:                              ;   in Loop: Header=BB28_22 Depth=2
	s_or_b64 exec, exec, s[36:37]
	s_and_b64 s[6:7], exec, s[34:35]
	v_mov_b32_e32 v29, v14
	s_or_b64 s[30:31], s[6:7], s[30:31]
	v_mov_b32_e32 v14, v27
	s_andn2_b64 exec, exec, s[30:31]
	s_cbranch_execz .LBB28_33
.LBB28_22:                              ;   Parent Loop BB28_19 Depth=1
                                        ; =>  This Inner Loop Header: Depth=2
	global_load_dword v27, v[30:31], off
	s_waitcnt vmcnt(0)
	v_subrev_u32_e32 v27, s8, v27
	v_cmp_le_i32_e64 s[6:7], v27, v19
	s_and_saveexec_b64 s[34:35], s[6:7]
	s_xor_b64 s[34:35], exec, s[34:35]
	s_cbranch_execz .LBB28_29
; %bb.23:                               ;   in Loop: Header=BB28_22 Depth=2
	ds_write_b32 v25, v37
	s_and_saveexec_b64 s[36:37], s[0:1]
	s_cbranch_execz .LBB28_28
; %bb.24:                               ;   in Loop: Header=BB28_22 Depth=2
	s_mov_b64 s[38:39], -1
	s_and_b64 vcc, exec, s[28:29]
	s_cbranch_vccz .LBB28_26
; %bb.25:                               ;   in Loop: Header=BB28_22 Depth=2
	v_add_u32_e32 v38, v28, v17
	v_ashrrev_i32_e32 v39, 31, v38
	v_lshl_add_u64 v[38:39], v[38:39], 4, s[26:27]
	global_load_dwordx4 v[38:41], v[38:39], off
	s_mov_b64 s[38:39], 0
	s_waitcnt vmcnt(0)
	v_mul_f64 v[42:43], v[40:41], -v[12:13]
	v_mul_f64 v[44:45], v[10:11], v[40:41]
	v_fmac_f64_e32 v[42:43], v[10:11], v[38:39]
	v_fmac_f64_e32 v[44:45], v[12:13], v[38:39]
	ds_write_b128 v33, v[42:45]
.LBB28_26:                              ;   in Loop: Header=BB28_22 Depth=2
	s_andn2_b64 vcc, exec, s[38:39]
	s_cbranch_vccnz .LBB28_28
; %bb.27:                               ;   in Loop: Header=BB28_22 Depth=2
	v_add_u32_e32 v38, v26, v17
	v_ashrrev_i32_e32 v39, 31, v38
	v_lshl_add_u64 v[38:39], v[38:39], 4, s[26:27]
	global_load_dwordx4 v[38:41], v[38:39], off
	s_waitcnt vmcnt(0)
	v_mul_f64 v[42:43], v[40:41], -v[12:13]
	v_mul_f64 v[44:45], v[10:11], v[40:41]
	v_fmac_f64_e32 v[42:43], v[10:11], v[38:39]
	v_fmac_f64_e32 v[44:45], v[12:13], v[38:39]
	ds_write_b128 v34, v[42:45]
.LBB28_28:                              ;   in Loop: Header=BB28_22 Depth=2
	s_or_b64 exec, exec, s[36:37]
                                        ; implicit-def: $vgpr27
	s_andn2_saveexec_b64 s[34:35], s[34:35]
	s_branch .LBB28_30
.LBB28_29:                              ;   in Loop: Header=BB28_22 Depth=2
	s_andn2_saveexec_b64 s[34:35], s[34:35]
.LBB28_30:                              ;   in Loop: Header=BB28_22 Depth=2
	v_min_i32_e32 v15, v27, v15
; %bb.31:                               ;   in Loop: Header=BB28_22 Depth=2
	s_or_b64 exec, exec, s[34:35]
	s_mov_b64 s[34:35], -1
                                        ; implicit-def: $vgpr27
	s_and_saveexec_b64 s[36:37], s[6:7]
	s_cbranch_execz .LBB28_21
; %bb.32:                               ;   in Loop: Header=BB28_22 Depth=2
	v_add_u32_e32 v27, 1, v14
	v_cmp_ge_i32_e32 vcc, v27, v1
	v_add_u32_e32 v17, s11, v17
	v_lshl_add_u64 v[30:31], v[30:31], 0, 4
	s_orn2_b64 s[34:35], vcc, exec
	v_mov_b32_e32 v14, v1
	s_branch .LBB28_21
.LBB28_33:                              ;   in Loop: Header=BB28_19 Depth=1
	s_or_b64 exec, exec, s[30:31]
	v_mov_b32_e32 v14, v29
.LBB28_34:                              ;   in Loop: Header=BB28_19 Depth=1
	s_or_b64 exec, exec, s[12:13]
	v_cmp_lt_i32_e32 vcc, v16, v21
	s_waitcnt lgkmcnt(0)
	; wave barrier
	s_and_saveexec_b64 s[12:13], vcc
	s_cbranch_execz .LBB28_49
; %bb.35:                               ;   in Loop: Header=BB28_19 Depth=1
	v_mul_lo_u32 v17, s15, v16
	v_add_u32_e32 v26, v20, v17
	v_add_u32_e32 v17, v22, v17
	v_mad_u64_u32 v[28:29], s[6:7], s15, v17, v[20:21]
	v_ashrrev_i32_e32 v17, 31, v16
	v_mad_u64_u32 v[26:27], s[6:7], s15, v26, v[22:23]
	v_lshl_add_u64 v[30:31], v[16:17], 2, s[22:23]
	s_mov_b64 s[30:31], 0
	v_mov_b32_e32 v17, 0
	s_branch .LBB28_37
.LBB28_36:                              ;   in Loop: Header=BB28_37 Depth=2
	s_or_b64 exec, exec, s[36:37]
	s_and_b64 s[6:7], exec, s[34:35]
	v_mov_b32_e32 v29, v16
	s_or_b64 s[30:31], s[6:7], s[30:31]
	v_mov_b32_e32 v16, v27
	s_andn2_b64 exec, exec, s[30:31]
	s_cbranch_execz .LBB28_48
.LBB28_37:                              ;   Parent Loop BB28_19 Depth=1
                                        ; =>  This Inner Loop Header: Depth=2
	global_load_dword v27, v[30:31], off
	s_waitcnt vmcnt(0)
	v_subrev_u32_e32 v27, s9, v27
	v_cmp_le_i32_e64 s[6:7], v27, v19
	s_and_saveexec_b64 s[34:35], s[6:7]
	s_xor_b64 s[34:35], exec, s[34:35]
	s_cbranch_execz .LBB28_44
; %bb.38:                               ;   in Loop: Header=BB28_37 Depth=2
	ds_write_b32 v25, v37
	s_and_saveexec_b64 s[36:37], s[0:1]
	s_cbranch_execz .LBB28_43
; %bb.39:                               ;   in Loop: Header=BB28_37 Depth=2
	s_mov_b64 s[38:39], -1
	s_and_b64 vcc, exec, s[28:29]
	s_cbranch_vccz .LBB28_41
; %bb.40:                               ;   in Loop: Header=BB28_37 Depth=2
	v_add_u32_e32 v38, v28, v17
	v_ashrrev_i32_e32 v39, 31, v38
	v_lshl_add_u64 v[38:39], v[38:39], 4, s[24:25]
	global_load_dwordx4 v[38:41], v[38:39], off
	ds_read_b128 v[42:45], v33
	s_mov_b64 s[38:39], 0
	s_waitcnt vmcnt(0) lgkmcnt(0)
	v_fmac_f64_e32 v[42:43], v[2:3], v[38:39]
	v_fmac_f64_e32 v[44:45], v[4:5], v[38:39]
	v_fma_f64 v[42:43], -v[4:5], v[40:41], v[42:43]
	v_fmac_f64_e32 v[44:45], v[2:3], v[40:41]
	ds_write_b128 v33, v[42:45]
.LBB28_41:                              ;   in Loop: Header=BB28_37 Depth=2
	s_andn2_b64 vcc, exec, s[38:39]
	s_cbranch_vccnz .LBB28_43
; %bb.42:                               ;   in Loop: Header=BB28_37 Depth=2
	v_add_u32_e32 v38, v26, v17
	v_ashrrev_i32_e32 v39, 31, v38
	v_lshl_add_u64 v[38:39], v[38:39], 4, s[24:25]
	global_load_dwordx4 v[38:41], v[38:39], off
	ds_read_b128 v[42:45], v34
	s_waitcnt vmcnt(0) lgkmcnt(0)
	v_fmac_f64_e32 v[42:43], v[2:3], v[38:39]
	v_fmac_f64_e32 v[44:45], v[4:5], v[38:39]
	v_fma_f64 v[42:43], -v[4:5], v[40:41], v[42:43]
	v_fmac_f64_e32 v[44:45], v[2:3], v[40:41]
	ds_write_b128 v34, v[42:45]
.LBB28_43:                              ;   in Loop: Header=BB28_37 Depth=2
	s_or_b64 exec, exec, s[36:37]
                                        ; implicit-def: $vgpr27
	s_andn2_saveexec_b64 s[34:35], s[34:35]
	s_branch .LBB28_45
.LBB28_44:                              ;   in Loop: Header=BB28_37 Depth=2
	s_andn2_saveexec_b64 s[34:35], s[34:35]
.LBB28_45:                              ;   in Loop: Header=BB28_37 Depth=2
	v_min_i32_e32 v15, v27, v15
; %bb.46:                               ;   in Loop: Header=BB28_37 Depth=2
	s_or_b64 exec, exec, s[34:35]
	s_mov_b64 s[34:35], -1
                                        ; implicit-def: $vgpr27
	s_and_saveexec_b64 s[36:37], s[6:7]
	s_cbranch_execz .LBB28_36
; %bb.47:                               ;   in Loop: Header=BB28_37 Depth=2
	v_add_u32_e32 v27, 1, v16
	v_cmp_ge_i32_e32 vcc, v27, v21
	v_add_u32_e32 v17, s11, v17
	v_lshl_add_u64 v[30:31], v[30:31], 0, 4
	s_orn2_b64 s[34:35], vcc, exec
	v_mov_b32_e32 v16, v21
	s_branch .LBB28_36
.LBB28_48:                              ;   in Loop: Header=BB28_19 Depth=1
	s_or_b64 exec, exec, s[30:31]
	v_mov_b32_e32 v16, v29
.LBB28_49:                              ;   in Loop: Header=BB28_19 Depth=1
	s_or_b64 exec, exec, s[12:13]
	s_waitcnt lgkmcnt(0)
	; wave barrier
	ds_read_b32 v17, v25
	s_waitcnt lgkmcnt(0)
	v_cmp_ne_u32_e32 vcc, 0, v17
	s_and_saveexec_b64 s[6:7], vcc
	s_cbranch_execz .LBB28_52
; %bb.50:                               ;   in Loop: Header=BB28_19 Depth=1
	v_add_u32_e32 v17, s10, v19
	v_ashrrev_i32_e32 v19, 31, v18
	v_lshl_add_u64 v[26:27], v[18:19], 2, s[16:17]
	global_store_dword v[26:27], v17, off
	s_and_b64 exec, exec, s[0:1]
	s_cbranch_execz .LBB28_52
; %bb.51:                               ;   in Loop: Header=BB28_19 Depth=1
	ds_read2_b64 v[26:29], v36 offset1:1
	v_mad_u64_u32 v[30:31], s[12:13], v18, s15, v[0:1]
	v_mad_u64_u32 v[30:31], s[12:13], v30, s15, v[24:25]
	v_ashrrev_i32_e32 v31, 31, v30
	v_lshl_add_u64 v[30:31], v[30:31], 4, s[18:19]
	s_waitcnt lgkmcnt(0)
	global_store_dwordx4 v[30:31], v[26:29], off
.LBB28_52:                              ;   in Loop: Header=BB28_19 Depth=1
	s_or_b64 exec, exec, s[6:7]
	v_cmp_le_i32_e32 vcc, s14, v15
	; wave barrier
	s_nop 1
	v_cndmask_b32_e64 v17, 0, 1, vcc
	; wave barrier
	ds_write_b32 v23, v17
	s_waitcnt lgkmcnt(0)
	; wave barrier
	s_and_saveexec_b64 s[6:7], s[2:3]
	s_cbranch_execz .LBB28_54
; %bb.53:                               ;   in Loop: Header=BB28_19 Depth=1
	ds_read2_b32 v[26:27], v35 offset1:2
	s_waitcnt lgkmcnt(0)
	v_add_u32_e32 v17, v27, v26
	ds_write_b32 v35, v17
.LBB28_54:                              ;   in Loop: Header=BB28_19 Depth=1
	s_or_b64 exec, exec, s[6:7]
	s_waitcnt lgkmcnt(0)
	; wave barrier
	s_and_saveexec_b64 s[6:7], s[4:5]
	s_cbranch_execz .LBB28_18
; %bb.55:                               ;   in Loop: Header=BB28_19 Depth=1
	ds_read_b64 v[26:27], v6 offset:1024
	s_waitcnt lgkmcnt(0)
	v_add_u32_e32 v17, v27, v26
	ds_write_b32 v6, v17 offset:1024
	s_branch .LBB28_18
.LBB28_56:
	s_endpgm
	.section	.rodata,"a",@progbits
	.p2align	6, 0x0
	.amdhsa_kernel _ZN9rocsparseL35bsrgeam_wf_per_row_multipass_kernelILj64ELj4E21rocsparse_complex_numIdEEEv20rocsparse_direction_iiiNS_24const_host_device_scalarIT1_EEPKiS8_PKS5_S6_S8_S8_SA_S8_PiPS5_21rocsparse_index_base_SD_SD_b
		.amdhsa_group_segment_fixed_size 1056
		.amdhsa_private_segment_fixed_size 16
		.amdhsa_kernarg_size 136
		.amdhsa_user_sgpr_count 2
		.amdhsa_user_sgpr_dispatch_ptr 0
		.amdhsa_user_sgpr_queue_ptr 0
		.amdhsa_user_sgpr_kernarg_segment_ptr 1
		.amdhsa_user_sgpr_dispatch_id 0
		.amdhsa_user_sgpr_kernarg_preload_length 0
		.amdhsa_user_sgpr_kernarg_preload_offset 0
		.amdhsa_user_sgpr_private_segment_size 0
		.amdhsa_uses_dynamic_stack 0
		.amdhsa_enable_private_segment 1
		.amdhsa_system_sgpr_workgroup_id_x 1
		.amdhsa_system_sgpr_workgroup_id_y 0
		.amdhsa_system_sgpr_workgroup_id_z 0
		.amdhsa_system_sgpr_workgroup_info 0
		.amdhsa_system_vgpr_workitem_id 0
		.amdhsa_next_free_vgpr 46
		.amdhsa_next_free_sgpr 40
		.amdhsa_accum_offset 48
		.amdhsa_reserve_vcc 1
		.amdhsa_float_round_mode_32 0
		.amdhsa_float_round_mode_16_64 0
		.amdhsa_float_denorm_mode_32 3
		.amdhsa_float_denorm_mode_16_64 3
		.amdhsa_dx10_clamp 1
		.amdhsa_ieee_mode 1
		.amdhsa_fp16_overflow 0
		.amdhsa_tg_split 0
		.amdhsa_exception_fp_ieee_invalid_op 0
		.amdhsa_exception_fp_denorm_src 0
		.amdhsa_exception_fp_ieee_div_zero 0
		.amdhsa_exception_fp_ieee_overflow 0
		.amdhsa_exception_fp_ieee_underflow 0
		.amdhsa_exception_fp_ieee_inexact 0
		.amdhsa_exception_int_div_zero 0
	.end_amdhsa_kernel
	.section	.text._ZN9rocsparseL35bsrgeam_wf_per_row_multipass_kernelILj64ELj4E21rocsparse_complex_numIdEEEv20rocsparse_direction_iiiNS_24const_host_device_scalarIT1_EEPKiS8_PKS5_S6_S8_S8_SA_S8_PiPS5_21rocsparse_index_base_SD_SD_b,"axG",@progbits,_ZN9rocsparseL35bsrgeam_wf_per_row_multipass_kernelILj64ELj4E21rocsparse_complex_numIdEEEv20rocsparse_direction_iiiNS_24const_host_device_scalarIT1_EEPKiS8_PKS5_S6_S8_S8_SA_S8_PiPS5_21rocsparse_index_base_SD_SD_b,comdat
.Lfunc_end28:
	.size	_ZN9rocsparseL35bsrgeam_wf_per_row_multipass_kernelILj64ELj4E21rocsparse_complex_numIdEEEv20rocsparse_direction_iiiNS_24const_host_device_scalarIT1_EEPKiS8_PKS5_S6_S8_S8_SA_S8_PiPS5_21rocsparse_index_base_SD_SD_b, .Lfunc_end28-_ZN9rocsparseL35bsrgeam_wf_per_row_multipass_kernelILj64ELj4E21rocsparse_complex_numIdEEEv20rocsparse_direction_iiiNS_24const_host_device_scalarIT1_EEPKiS8_PKS5_S6_S8_S8_SA_S8_PiPS5_21rocsparse_index_base_SD_SD_b
                                        ; -- End function
	.set _ZN9rocsparseL35bsrgeam_wf_per_row_multipass_kernelILj64ELj4E21rocsparse_complex_numIdEEEv20rocsparse_direction_iiiNS_24const_host_device_scalarIT1_EEPKiS8_PKS5_S6_S8_S8_SA_S8_PiPS5_21rocsparse_index_base_SD_SD_b.num_vgpr, 46
	.set _ZN9rocsparseL35bsrgeam_wf_per_row_multipass_kernelILj64ELj4E21rocsparse_complex_numIdEEEv20rocsparse_direction_iiiNS_24const_host_device_scalarIT1_EEPKiS8_PKS5_S6_S8_S8_SA_S8_PiPS5_21rocsparse_index_base_SD_SD_b.num_agpr, 0
	.set _ZN9rocsparseL35bsrgeam_wf_per_row_multipass_kernelILj64ELj4E21rocsparse_complex_numIdEEEv20rocsparse_direction_iiiNS_24const_host_device_scalarIT1_EEPKiS8_PKS5_S6_S8_S8_SA_S8_PiPS5_21rocsparse_index_base_SD_SD_b.numbered_sgpr, 40
	.set _ZN9rocsparseL35bsrgeam_wf_per_row_multipass_kernelILj64ELj4E21rocsparse_complex_numIdEEEv20rocsparse_direction_iiiNS_24const_host_device_scalarIT1_EEPKiS8_PKS5_S6_S8_S8_SA_S8_PiPS5_21rocsparse_index_base_SD_SD_b.num_named_barrier, 0
	.set _ZN9rocsparseL35bsrgeam_wf_per_row_multipass_kernelILj64ELj4E21rocsparse_complex_numIdEEEv20rocsparse_direction_iiiNS_24const_host_device_scalarIT1_EEPKiS8_PKS5_S6_S8_S8_SA_S8_PiPS5_21rocsparse_index_base_SD_SD_b.private_seg_size, 16
	.set _ZN9rocsparseL35bsrgeam_wf_per_row_multipass_kernelILj64ELj4E21rocsparse_complex_numIdEEEv20rocsparse_direction_iiiNS_24const_host_device_scalarIT1_EEPKiS8_PKS5_S6_S8_S8_SA_S8_PiPS5_21rocsparse_index_base_SD_SD_b.uses_vcc, 1
	.set _ZN9rocsparseL35bsrgeam_wf_per_row_multipass_kernelILj64ELj4E21rocsparse_complex_numIdEEEv20rocsparse_direction_iiiNS_24const_host_device_scalarIT1_EEPKiS8_PKS5_S6_S8_S8_SA_S8_PiPS5_21rocsparse_index_base_SD_SD_b.uses_flat_scratch, 0
	.set _ZN9rocsparseL35bsrgeam_wf_per_row_multipass_kernelILj64ELj4E21rocsparse_complex_numIdEEEv20rocsparse_direction_iiiNS_24const_host_device_scalarIT1_EEPKiS8_PKS5_S6_S8_S8_SA_S8_PiPS5_21rocsparse_index_base_SD_SD_b.has_dyn_sized_stack, 0
	.set _ZN9rocsparseL35bsrgeam_wf_per_row_multipass_kernelILj64ELj4E21rocsparse_complex_numIdEEEv20rocsparse_direction_iiiNS_24const_host_device_scalarIT1_EEPKiS8_PKS5_S6_S8_S8_SA_S8_PiPS5_21rocsparse_index_base_SD_SD_b.has_recursion, 0
	.set _ZN9rocsparseL35bsrgeam_wf_per_row_multipass_kernelILj64ELj4E21rocsparse_complex_numIdEEEv20rocsparse_direction_iiiNS_24const_host_device_scalarIT1_EEPKiS8_PKS5_S6_S8_S8_SA_S8_PiPS5_21rocsparse_index_base_SD_SD_b.has_indirect_call, 0
	.section	.AMDGPU.csdata,"",@progbits
; Kernel info:
; codeLenInByte = 1832
; TotalNumSgprs: 46
; NumVgprs: 46
; NumAgprs: 0
; TotalNumVgprs: 46
; ScratchSize: 16
; MemoryBound: 0
; FloatMode: 240
; IeeeMode: 1
; LDSByteSize: 1056 bytes/workgroup (compile time only)
; SGPRBlocks: 5
; VGPRBlocks: 5
; NumSGPRsForWavesPerEU: 46
; NumVGPRsForWavesPerEU: 46
; AccumOffset: 48
; Occupancy: 8
; WaveLimiterHint : 1
; COMPUTE_PGM_RSRC2:SCRATCH_EN: 1
; COMPUTE_PGM_RSRC2:USER_SGPR: 2
; COMPUTE_PGM_RSRC2:TRAP_HANDLER: 0
; COMPUTE_PGM_RSRC2:TGID_X_EN: 1
; COMPUTE_PGM_RSRC2:TGID_Y_EN: 0
; COMPUTE_PGM_RSRC2:TGID_Z_EN: 0
; COMPUTE_PGM_RSRC2:TIDIG_COMP_CNT: 0
; COMPUTE_PGM_RSRC3_GFX90A:ACCUM_OFFSET: 11
; COMPUTE_PGM_RSRC3_GFX90A:TG_SPLIT: 0
	.section	.text._ZN9rocsparseL35bsrgeam_wf_per_row_multipass_kernelILj64ELj8E21rocsparse_complex_numIdEEEv20rocsparse_direction_iiiNS_24const_host_device_scalarIT1_EEPKiS8_PKS5_S6_S8_S8_SA_S8_PiPS5_21rocsparse_index_base_SD_SD_b,"axG",@progbits,_ZN9rocsparseL35bsrgeam_wf_per_row_multipass_kernelILj64ELj8E21rocsparse_complex_numIdEEEv20rocsparse_direction_iiiNS_24const_host_device_scalarIT1_EEPKiS8_PKS5_S6_S8_S8_SA_S8_PiPS5_21rocsparse_index_base_SD_SD_b,comdat
	.globl	_ZN9rocsparseL35bsrgeam_wf_per_row_multipass_kernelILj64ELj8E21rocsparse_complex_numIdEEEv20rocsparse_direction_iiiNS_24const_host_device_scalarIT1_EEPKiS8_PKS5_S6_S8_S8_SA_S8_PiPS5_21rocsparse_index_base_SD_SD_b ; -- Begin function _ZN9rocsparseL35bsrgeam_wf_per_row_multipass_kernelILj64ELj8E21rocsparse_complex_numIdEEEv20rocsparse_direction_iiiNS_24const_host_device_scalarIT1_EEPKiS8_PKS5_S6_S8_S8_SA_S8_PiPS5_21rocsparse_index_base_SD_SD_b
	.p2align	8
	.type	_ZN9rocsparseL35bsrgeam_wf_per_row_multipass_kernelILj64ELj8E21rocsparse_complex_numIdEEEv20rocsparse_direction_iiiNS_24const_host_device_scalarIT1_EEPKiS8_PKS5_S6_S8_S8_SA_S8_PiPS5_21rocsparse_index_base_SD_SD_b,@function
_ZN9rocsparseL35bsrgeam_wf_per_row_multipass_kernelILj64ELj8E21rocsparse_complex_numIdEEEv20rocsparse_direction_iiiNS_24const_host_device_scalarIT1_EEPKiS8_PKS5_S6_S8_S8_SA_S8_PiPS5_21rocsparse_index_base_SD_SD_b: ; @_ZN9rocsparseL35bsrgeam_wf_per_row_multipass_kernelILj64ELj8E21rocsparse_complex_numIdEEEv20rocsparse_direction_iiiNS_24const_host_device_scalarIT1_EEPKiS8_PKS5_S6_S8_S8_SA_S8_PiPS5_21rocsparse_index_base_SD_SD_b
; %bb.0:
	s_load_dwordx4 s[4:7], s[0:1], 0x78
	s_load_dwordx4 s[8:11], s[0:1], 0x10
	s_load_dwordx2 s[14:15], s[0:1], 0x20
	s_mov_b64 s[16:17], src_private_base
	s_waitcnt lgkmcnt(0)
	s_bitcmp1_b32 s7, 0
	s_cselect_b64 s[12:13], -1, 0
	s_and_b64 vcc, s[12:13], exec
	v_mov_b64_e32 v[2:3], s[8:9]
	s_cselect_b32 s3, s17, s9
	s_cselect_b32 s7, 0, s8
	scratch_store_dwordx2 off, v[2:3], off
	v_mov_b32_e32 v2, s7
	v_mov_b32_e32 v3, s3
	flat_load_dwordx2 v[10:11], v[2:3]
	v_mov_b64_e32 v[12:13], s[10:11]
	s_cbranch_vccnz .LBB29_2
; %bb.1:
	v_mov_b64_e32 v[2:3], s[8:9]
	flat_load_dwordx2 v[12:13], v[2:3] offset:8
.LBB29_2:
	s_load_dwordx2 s[8:9], s[0:1], 0x38
	s_add_u32 s3, s0, 56
	s_addc_u32 s7, s1, 0
	s_and_b64 s[10:11], s[12:13], exec
	v_mov_b32_e32 v1, 0
	s_waitcnt lgkmcnt(0)
	s_cselect_b32 s7, s7, s9
	s_cselect_b32 s3, s3, s8
	v_mov_b32_e32 v2, s3
	v_mov_b32_e32 v3, s7
	flat_load_dwordx4 v[2:5], v[2:3]
	s_load_dwordx4 s[8:11], s[0:1], 0x0
	v_mov_b32_e32 v6, s2
	v_mov_b32_e32 v14, 0
	s_waitcnt lgkmcnt(0)
	s_cmp_ge_i32 s2, s9
	s_cselect_b64 s[12:13], -1, 0
	s_cmp_lt_i32 s2, s9
	s_cselect_b64 s[18:19], -1, 0
	s_and_saveexec_b64 s[16:17], s[18:19]
	s_cbranch_execz .LBB29_4
; %bb.3:
	v_ashrrev_i32_e64 v7, 31, s2
	v_lshl_add_u64 v[8:9], v[6:7], 2, s[14:15]
	global_load_dword v7, v[8:9], off
	s_waitcnt vmcnt(0)
	v_subrev_u32_e32 v14, s4, v7
.LBB29_4:
	s_or_b64 exec, exec, s[16:17]
	s_load_dwordx2 s[16:17], s[0:1], 0x48
	s_and_saveexec_b64 s[20:21], s[18:19]
	s_cbranch_execz .LBB29_6
; %bb.5:
	v_ashrrev_i32_e64 v7, 31, s2
	v_lshl_add_u64 v[8:9], v[6:7], 2, s[14:15]
	global_load_dword v1, v[8:9], off offset:4
	s_waitcnt vmcnt(0)
	v_subrev_u32_e32 v1, s4, v1
.LBB29_6:
	s_or_b64 exec, exec, s[20:21]
	v_mov_b32_e32 v21, 0
	v_mov_b32_e32 v16, 0
	s_and_saveexec_b64 s[14:15], s[18:19]
	s_cbranch_execz .LBB29_8
; %bb.7:
	v_ashrrev_i32_e64 v7, 31, s2
	s_waitcnt lgkmcnt(0)
	v_lshl_add_u64 v[8:9], v[6:7], 2, s[16:17]
	global_load_dword v7, v[8:9], off
	s_waitcnt vmcnt(0)
	v_subrev_u32_e32 v16, s5, v7
.LBB29_8:
	s_or_b64 exec, exec, s[14:15]
	s_and_saveexec_b64 s[14:15], s[18:19]
	s_cbranch_execz .LBB29_10
; %bb.9:
	v_ashrrev_i32_e64 v7, 31, s2
	s_waitcnt lgkmcnt(0)
	v_lshl_add_u64 v[8:9], v[6:7], 2, s[16:17]
	global_load_dword v7, v[8:9], off offset:4
	s_waitcnt vmcnt(0)
	v_subrev_u32_e32 v21, s5, v7
.LBB29_10:
	s_or_b64 exec, exec, s[14:15]
	s_waitcnt lgkmcnt(0)
	s_load_dwordx2 s[16:17], s[0:1], 0x28
	v_mov_b32_e32 v18, 0
	s_and_saveexec_b64 s[14:15], s[18:19]
	s_cbranch_execz .LBB29_12
; %bb.11:
	s_load_dwordx2 s[18:19], s[0:1], 0x60
	v_ashrrev_i32_e64 v7, 31, s2
	s_waitcnt lgkmcnt(0)
	v_lshl_add_u64 v[6:7], v[6:7], 2, s[18:19]
	global_load_dword v6, v[6:7], off
	s_waitcnt vmcnt(0)
	v_subrev_u32_e32 v18, s6, v6
.LBB29_12:
	s_or_b64 exec, exec, s[14:15]
	s_load_dwordx2 s[18:19], s[0:1], 0x50
	v_cmp_lt_i32_e32 vcc, v14, v1
	v_mov_b32_e32 v7, s10
	s_and_saveexec_b64 s[2:3], vcc
	s_cbranch_execz .LBB29_14
; %bb.13:
	v_ashrrev_i32_e32 v15, 31, v14
	s_waitcnt lgkmcnt(0)
	v_lshl_add_u64 v[6:7], v[14:15], 2, s[16:17]
	global_load_dword v6, v[6:7], off
	s_waitcnt vmcnt(0)
	v_subrev_u32_e32 v7, s4, v6
.LBB29_14:
	s_or_b64 exec, exec, s[2:3]
	v_cmp_lt_i32_e32 vcc, v16, v21
	v_mov_b32_e32 v8, s10
	s_and_saveexec_b64 s[2:3], vcc
	s_cbranch_execz .LBB29_16
; %bb.15:
	v_ashrrev_i32_e32 v17, 31, v16
	s_waitcnt lgkmcnt(0)
	v_lshl_add_u64 v[8:9], v[16:17], 2, s[18:19]
	global_load_dword v6, v[8:9], off
	s_waitcnt vmcnt(0)
	v_subrev_u32_e32 v8, s5, v6
.LBB29_16:
	s_or_b64 exec, exec, s[2:3]
	v_cndmask_b32_e64 v9, 0, 1, s[12:13]
	v_mov_b32_e32 v6, 0
	ds_write_b32 v6, v9 offset:1024
	s_waitcnt lgkmcnt(0)
	; wave barrier
	ds_read_b32 v9, v6 offset:1024
	s_waitcnt lgkmcnt(0)
	v_cmp_ne_u32_e32 vcc, 0, v9
	s_cbranch_vccz .LBB29_18
.LBB29_17:
	s_endpgm
.LBB29_18:
	s_load_dwordx4 s[12:15], s[0:1], 0x68
	s_load_dwordx2 s[20:21], s[0:1], 0x58
	s_load_dwordx2 s[22:23], s[0:1], 0x30
	v_and_b32_e32 v20, 7, v0
	v_lshrrev_b32_e32 v22, 3, v0
	v_lshlrev_b32_e32 v32, 4, v0
	v_max_i32_e32 v0, v22, v20
	v_cmp_gt_i32_e64 s[0:1], s11, v0
	s_cmp_lg_u32 s8, 0
	v_lshlrev_b32_e32 v0, 4, v20
	s_cselect_b64 s[24:25], -1, 0
	s_cmp_eq_u32 s8, 0
	v_lshl_or_b32 v33, v22, 7, v0
	v_lshlrev_b32_e32 v0, 4, v22
	v_lshl_or_b32 v34, v20, 7, v0
	s_cselect_b64 vcc, -1, 0
	v_mov_b32_e32 v23, 0x400
	v_min_i32_e32 v15, v8, v7
	v_mov_b32_e32 v25, 0x404
	v_cndmask_b32_e32 v0, v22, v20, vcc
	v_cndmask_b32_e32 v24, v20, v22, vcc
	;; [unrolled: 1-line block ×3, first 2 shown]
	s_mul_i32 s7, s11, s11
	v_mov_b32_e32 v7, v6
	v_mov_b32_e32 v8, v6
	;; [unrolled: 1-line block ×4, first 2 shown]
	s_branch .LBB29_20
.LBB29_19:                              ;   in Loop: Header=BB29_20 Depth=1
	s_or_b64 exec, exec, s[2:3]
	v_cmp_le_i32_e32 vcc, s10, v15
	; wave barrier
	s_nop 1
	v_cndmask_b32_e64 v17, 0, 1, vcc
	; wave barrier
	ds_write_b32 v23, v17
	s_waitcnt lgkmcnt(0)
	; wave barrier
	ds_read_b32 v17, v6 offset:1024
	v_add_u32_e32 v18, 1, v18
	s_waitcnt lgkmcnt(0)
	v_cmp_eq_u32_e32 vcc, 0, v17
	s_cbranch_vccz .LBB29_17
.LBB29_20:                              ; =>This Loop Header: Depth=1
                                        ;     Child Loop BB29_23 Depth 2
                                        ;     Child Loop BB29_38 Depth 2
	v_mov_b32_e32 v19, v15
	v_cmp_lt_i32_e32 vcc, v14, v1
	v_mov_b32_e32 v15, s10
	ds_write_b32 v25, v6
	ds_write_b128 v32, v[6:9]
	s_waitcnt lgkmcnt(0)
	; wave barrier
	s_and_saveexec_b64 s[8:9], vcc
	s_cbranch_execz .LBB29_35
; %bb.21:                               ;   in Loop: Header=BB29_20 Depth=1
	v_mul_lo_u32 v15, s11, v14
	v_add_u32_e32 v17, v20, v15
	v_add_u32_e32 v15, v22, v15
	v_mad_u64_u32 v[28:29], s[2:3], s11, v15, v[20:21]
	v_ashrrev_i32_e32 v15, 31, v14
	v_mad_u64_u32 v[26:27], s[2:3], s11, v17, v[22:23]
	v_lshl_add_u64 v[30:31], v[14:15], 2, s[16:17]
	s_mov_b64 s[26:27], 0
	v_mov_b32_e32 v17, 0
	v_mov_b32_e32 v15, s10
	s_branch .LBB29_23
.LBB29_22:                              ;   in Loop: Header=BB29_23 Depth=2
	s_or_b64 exec, exec, s[30:31]
	s_and_b64 s[2:3], exec, s[28:29]
	v_mov_b32_e32 v29, v14
	s_or_b64 s[26:27], s[2:3], s[26:27]
	v_mov_b32_e32 v14, v27
	s_andn2_b64 exec, exec, s[26:27]
	s_cbranch_execz .LBB29_34
.LBB29_23:                              ;   Parent Loop BB29_20 Depth=1
                                        ; =>  This Inner Loop Header: Depth=2
	global_load_dword v27, v[30:31], off
	s_waitcnt vmcnt(0)
	v_subrev_u32_e32 v27, s4, v27
	v_cmp_le_i32_e64 s[2:3], v27, v19
	s_and_saveexec_b64 s[28:29], s[2:3]
	s_xor_b64 s[28:29], exec, s[28:29]
	s_cbranch_execz .LBB29_30
; %bb.24:                               ;   in Loop: Header=BB29_23 Depth=2
	ds_write_b32 v25, v36
	s_and_saveexec_b64 s[30:31], s[0:1]
	s_cbranch_execz .LBB29_29
; %bb.25:                               ;   in Loop: Header=BB29_23 Depth=2
	s_mov_b64 s[34:35], -1
	s_and_b64 vcc, exec, s[24:25]
	s_cbranch_vccz .LBB29_27
; %bb.26:                               ;   in Loop: Header=BB29_23 Depth=2
	v_add_u32_e32 v38, v28, v17
	v_ashrrev_i32_e32 v39, 31, v38
	v_lshl_add_u64 v[38:39], v[38:39], 4, s[22:23]
	global_load_dwordx4 v[38:41], v[38:39], off
	s_mov_b64 s[34:35], 0
	s_waitcnt vmcnt(0)
	v_mul_f64 v[42:43], v[40:41], -v[12:13]
	v_mul_f64 v[44:45], v[10:11], v[40:41]
	v_fmac_f64_e32 v[42:43], v[10:11], v[38:39]
	v_fmac_f64_e32 v[44:45], v[12:13], v[38:39]
	ds_write_b128 v33, v[42:45]
.LBB29_27:                              ;   in Loop: Header=BB29_23 Depth=2
	s_andn2_b64 vcc, exec, s[34:35]
	s_cbranch_vccnz .LBB29_29
; %bb.28:                               ;   in Loop: Header=BB29_23 Depth=2
	v_add_u32_e32 v38, v26, v17
	v_ashrrev_i32_e32 v39, 31, v38
	v_lshl_add_u64 v[38:39], v[38:39], 4, s[22:23]
	global_load_dwordx4 v[38:41], v[38:39], off
	s_waitcnt vmcnt(0)
	v_mul_f64 v[42:43], v[40:41], -v[12:13]
	v_mul_f64 v[44:45], v[10:11], v[40:41]
	v_fmac_f64_e32 v[42:43], v[10:11], v[38:39]
	v_fmac_f64_e32 v[44:45], v[12:13], v[38:39]
	ds_write_b128 v34, v[42:45]
.LBB29_29:                              ;   in Loop: Header=BB29_23 Depth=2
	s_or_b64 exec, exec, s[30:31]
                                        ; implicit-def: $vgpr27
	s_andn2_saveexec_b64 s[28:29], s[28:29]
	s_branch .LBB29_31
.LBB29_30:                              ;   in Loop: Header=BB29_23 Depth=2
	s_andn2_saveexec_b64 s[28:29], s[28:29]
.LBB29_31:                              ;   in Loop: Header=BB29_23 Depth=2
	v_min_i32_e32 v15, v27, v15
; %bb.32:                               ;   in Loop: Header=BB29_23 Depth=2
	s_or_b64 exec, exec, s[28:29]
	s_mov_b64 s[28:29], -1
                                        ; implicit-def: $vgpr27
	s_and_saveexec_b64 s[30:31], s[2:3]
	s_cbranch_execz .LBB29_22
; %bb.33:                               ;   in Loop: Header=BB29_23 Depth=2
	v_add_u32_e32 v27, 1, v14
	v_cmp_ge_i32_e32 vcc, v27, v1
	v_add_u32_e32 v17, s7, v17
	v_lshl_add_u64 v[30:31], v[30:31], 0, 4
	s_orn2_b64 s[28:29], vcc, exec
	v_mov_b32_e32 v14, v1
	s_branch .LBB29_22
.LBB29_34:                              ;   in Loop: Header=BB29_20 Depth=1
	s_or_b64 exec, exec, s[26:27]
	v_mov_b32_e32 v14, v29
.LBB29_35:                              ;   in Loop: Header=BB29_20 Depth=1
	s_or_b64 exec, exec, s[8:9]
	v_cmp_lt_i32_e32 vcc, v16, v21
	s_waitcnt lgkmcnt(0)
	; wave barrier
	s_and_saveexec_b64 s[8:9], vcc
	s_cbranch_execz .LBB29_50
; %bb.36:                               ;   in Loop: Header=BB29_20 Depth=1
	v_mul_lo_u32 v17, s11, v16
	v_add_u32_e32 v26, v20, v17
	v_add_u32_e32 v17, v22, v17
	v_mad_u64_u32 v[28:29], s[2:3], s11, v17, v[20:21]
	v_ashrrev_i32_e32 v17, 31, v16
	v_mad_u64_u32 v[26:27], s[2:3], s11, v26, v[22:23]
	v_lshl_add_u64 v[30:31], v[16:17], 2, s[18:19]
	s_mov_b64 s[26:27], 0
	v_mov_b32_e32 v17, 0
	s_branch .LBB29_38
.LBB29_37:                              ;   in Loop: Header=BB29_38 Depth=2
	s_or_b64 exec, exec, s[30:31]
	s_and_b64 s[2:3], exec, s[28:29]
	v_mov_b32_e32 v29, v16
	s_or_b64 s[26:27], s[2:3], s[26:27]
	v_mov_b32_e32 v16, v27
	s_andn2_b64 exec, exec, s[26:27]
	s_cbranch_execz .LBB29_49
.LBB29_38:                              ;   Parent Loop BB29_20 Depth=1
                                        ; =>  This Inner Loop Header: Depth=2
	global_load_dword v27, v[30:31], off
	s_waitcnt vmcnt(0)
	v_subrev_u32_e32 v27, s5, v27
	v_cmp_le_i32_e64 s[2:3], v27, v19
	s_and_saveexec_b64 s[28:29], s[2:3]
	s_xor_b64 s[28:29], exec, s[28:29]
	s_cbranch_execz .LBB29_45
; %bb.39:                               ;   in Loop: Header=BB29_38 Depth=2
	ds_write_b32 v25, v36
	s_and_saveexec_b64 s[30:31], s[0:1]
	s_cbranch_execz .LBB29_44
; %bb.40:                               ;   in Loop: Header=BB29_38 Depth=2
	s_mov_b64 s[34:35], -1
	s_and_b64 vcc, exec, s[24:25]
	s_cbranch_vccz .LBB29_42
; %bb.41:                               ;   in Loop: Header=BB29_38 Depth=2
	v_add_u32_e32 v38, v28, v17
	v_ashrrev_i32_e32 v39, 31, v38
	v_lshl_add_u64 v[38:39], v[38:39], 4, s[20:21]
	global_load_dwordx4 v[38:41], v[38:39], off
	ds_read_b128 v[42:45], v33
	s_mov_b64 s[34:35], 0
	s_waitcnt vmcnt(0) lgkmcnt(0)
	v_fmac_f64_e32 v[42:43], v[2:3], v[38:39]
	v_fmac_f64_e32 v[44:45], v[4:5], v[38:39]
	v_fma_f64 v[42:43], -v[4:5], v[40:41], v[42:43]
	v_fmac_f64_e32 v[44:45], v[2:3], v[40:41]
	ds_write_b128 v33, v[42:45]
.LBB29_42:                              ;   in Loop: Header=BB29_38 Depth=2
	s_andn2_b64 vcc, exec, s[34:35]
	s_cbranch_vccnz .LBB29_44
; %bb.43:                               ;   in Loop: Header=BB29_38 Depth=2
	v_add_u32_e32 v38, v26, v17
	v_ashrrev_i32_e32 v39, 31, v38
	v_lshl_add_u64 v[38:39], v[38:39], 4, s[20:21]
	global_load_dwordx4 v[38:41], v[38:39], off
	ds_read_b128 v[42:45], v34
	s_waitcnt vmcnt(0) lgkmcnt(0)
	v_fmac_f64_e32 v[42:43], v[2:3], v[38:39]
	v_fmac_f64_e32 v[44:45], v[4:5], v[38:39]
	v_fma_f64 v[42:43], -v[4:5], v[40:41], v[42:43]
	v_fmac_f64_e32 v[44:45], v[2:3], v[40:41]
	ds_write_b128 v34, v[42:45]
.LBB29_44:                              ;   in Loop: Header=BB29_38 Depth=2
	s_or_b64 exec, exec, s[30:31]
                                        ; implicit-def: $vgpr27
	s_andn2_saveexec_b64 s[28:29], s[28:29]
	s_branch .LBB29_46
.LBB29_45:                              ;   in Loop: Header=BB29_38 Depth=2
	s_andn2_saveexec_b64 s[28:29], s[28:29]
.LBB29_46:                              ;   in Loop: Header=BB29_38 Depth=2
	v_min_i32_e32 v15, v27, v15
; %bb.47:                               ;   in Loop: Header=BB29_38 Depth=2
	s_or_b64 exec, exec, s[28:29]
	s_mov_b64 s[28:29], -1
                                        ; implicit-def: $vgpr27
	s_and_saveexec_b64 s[30:31], s[2:3]
	s_cbranch_execz .LBB29_37
; %bb.48:                               ;   in Loop: Header=BB29_38 Depth=2
	v_add_u32_e32 v27, 1, v16
	v_cmp_ge_i32_e32 vcc, v27, v21
	v_add_u32_e32 v17, s7, v17
	v_lshl_add_u64 v[30:31], v[30:31], 0, 4
	s_orn2_b64 s[28:29], vcc, exec
	v_mov_b32_e32 v16, v21
	s_branch .LBB29_37
.LBB29_49:                              ;   in Loop: Header=BB29_20 Depth=1
	s_or_b64 exec, exec, s[26:27]
	v_mov_b32_e32 v16, v29
.LBB29_50:                              ;   in Loop: Header=BB29_20 Depth=1
	s_or_b64 exec, exec, s[8:9]
	s_waitcnt lgkmcnt(0)
	; wave barrier
	ds_read_b32 v17, v25
	s_waitcnt lgkmcnt(0)
	v_cmp_ne_u32_e32 vcc, 0, v17
	s_and_saveexec_b64 s[2:3], vcc
	s_cbranch_execz .LBB29_19
; %bb.51:                               ;   in Loop: Header=BB29_20 Depth=1
	v_add_u32_e32 v17, s6, v19
	v_ashrrev_i32_e32 v19, 31, v18
	v_lshl_add_u64 v[26:27], v[18:19], 2, s[12:13]
	global_store_dword v[26:27], v17, off
	s_and_b64 exec, exec, s[0:1]
	s_cbranch_execz .LBB29_19
; %bb.52:                               ;   in Loop: Header=BB29_20 Depth=1
	ds_read2_b64 v[26:29], v35 offset1:1
	v_mad_u64_u32 v[30:31], s[8:9], v18, s11, v[0:1]
	v_mad_u64_u32 v[30:31], s[8:9], v30, s11, v[24:25]
	v_ashrrev_i32_e32 v31, 31, v30
	v_lshl_add_u64 v[30:31], v[30:31], 4, s[14:15]
	s_waitcnt lgkmcnt(0)
	global_store_dwordx4 v[30:31], v[26:29], off
	s_branch .LBB29_19
	.section	.rodata,"a",@progbits
	.p2align	6, 0x0
	.amdhsa_kernel _ZN9rocsparseL35bsrgeam_wf_per_row_multipass_kernelILj64ELj8E21rocsparse_complex_numIdEEEv20rocsparse_direction_iiiNS_24const_host_device_scalarIT1_EEPKiS8_PKS5_S6_S8_S8_SA_S8_PiPS5_21rocsparse_index_base_SD_SD_b
		.amdhsa_group_segment_fixed_size 1032
		.amdhsa_private_segment_fixed_size 16
		.amdhsa_kernarg_size 136
		.amdhsa_user_sgpr_count 2
		.amdhsa_user_sgpr_dispatch_ptr 0
		.amdhsa_user_sgpr_queue_ptr 0
		.amdhsa_user_sgpr_kernarg_segment_ptr 1
		.amdhsa_user_sgpr_dispatch_id 0
		.amdhsa_user_sgpr_kernarg_preload_length 0
		.amdhsa_user_sgpr_kernarg_preload_offset 0
		.amdhsa_user_sgpr_private_segment_size 0
		.amdhsa_uses_dynamic_stack 0
		.amdhsa_enable_private_segment 1
		.amdhsa_system_sgpr_workgroup_id_x 1
		.amdhsa_system_sgpr_workgroup_id_y 0
		.amdhsa_system_sgpr_workgroup_id_z 0
		.amdhsa_system_sgpr_workgroup_info 0
		.amdhsa_system_vgpr_workitem_id 0
		.amdhsa_next_free_vgpr 46
		.amdhsa_next_free_sgpr 36
		.amdhsa_accum_offset 48
		.amdhsa_reserve_vcc 1
		.amdhsa_float_round_mode_32 0
		.amdhsa_float_round_mode_16_64 0
		.amdhsa_float_denorm_mode_32 3
		.amdhsa_float_denorm_mode_16_64 3
		.amdhsa_dx10_clamp 1
		.amdhsa_ieee_mode 1
		.amdhsa_fp16_overflow 0
		.amdhsa_tg_split 0
		.amdhsa_exception_fp_ieee_invalid_op 0
		.amdhsa_exception_fp_denorm_src 0
		.amdhsa_exception_fp_ieee_div_zero 0
		.amdhsa_exception_fp_ieee_overflow 0
		.amdhsa_exception_fp_ieee_underflow 0
		.amdhsa_exception_fp_ieee_inexact 0
		.amdhsa_exception_int_div_zero 0
	.end_amdhsa_kernel
	.section	.text._ZN9rocsparseL35bsrgeam_wf_per_row_multipass_kernelILj64ELj8E21rocsparse_complex_numIdEEEv20rocsparse_direction_iiiNS_24const_host_device_scalarIT1_EEPKiS8_PKS5_S6_S8_S8_SA_S8_PiPS5_21rocsparse_index_base_SD_SD_b,"axG",@progbits,_ZN9rocsparseL35bsrgeam_wf_per_row_multipass_kernelILj64ELj8E21rocsparse_complex_numIdEEEv20rocsparse_direction_iiiNS_24const_host_device_scalarIT1_EEPKiS8_PKS5_S6_S8_S8_SA_S8_PiPS5_21rocsparse_index_base_SD_SD_b,comdat
.Lfunc_end29:
	.size	_ZN9rocsparseL35bsrgeam_wf_per_row_multipass_kernelILj64ELj8E21rocsparse_complex_numIdEEEv20rocsparse_direction_iiiNS_24const_host_device_scalarIT1_EEPKiS8_PKS5_S6_S8_S8_SA_S8_PiPS5_21rocsparse_index_base_SD_SD_b, .Lfunc_end29-_ZN9rocsparseL35bsrgeam_wf_per_row_multipass_kernelILj64ELj8E21rocsparse_complex_numIdEEEv20rocsparse_direction_iiiNS_24const_host_device_scalarIT1_EEPKiS8_PKS5_S6_S8_S8_SA_S8_PiPS5_21rocsparse_index_base_SD_SD_b
                                        ; -- End function
	.set _ZN9rocsparseL35bsrgeam_wf_per_row_multipass_kernelILj64ELj8E21rocsparse_complex_numIdEEEv20rocsparse_direction_iiiNS_24const_host_device_scalarIT1_EEPKiS8_PKS5_S6_S8_S8_SA_S8_PiPS5_21rocsparse_index_base_SD_SD_b.num_vgpr, 46
	.set _ZN9rocsparseL35bsrgeam_wf_per_row_multipass_kernelILj64ELj8E21rocsparse_complex_numIdEEEv20rocsparse_direction_iiiNS_24const_host_device_scalarIT1_EEPKiS8_PKS5_S6_S8_S8_SA_S8_PiPS5_21rocsparse_index_base_SD_SD_b.num_agpr, 0
	.set _ZN9rocsparseL35bsrgeam_wf_per_row_multipass_kernelILj64ELj8E21rocsparse_complex_numIdEEEv20rocsparse_direction_iiiNS_24const_host_device_scalarIT1_EEPKiS8_PKS5_S6_S8_S8_SA_S8_PiPS5_21rocsparse_index_base_SD_SD_b.numbered_sgpr, 36
	.set _ZN9rocsparseL35bsrgeam_wf_per_row_multipass_kernelILj64ELj8E21rocsparse_complex_numIdEEEv20rocsparse_direction_iiiNS_24const_host_device_scalarIT1_EEPKiS8_PKS5_S6_S8_S8_SA_S8_PiPS5_21rocsparse_index_base_SD_SD_b.num_named_barrier, 0
	.set _ZN9rocsparseL35bsrgeam_wf_per_row_multipass_kernelILj64ELj8E21rocsparse_complex_numIdEEEv20rocsparse_direction_iiiNS_24const_host_device_scalarIT1_EEPKiS8_PKS5_S6_S8_S8_SA_S8_PiPS5_21rocsparse_index_base_SD_SD_b.private_seg_size, 16
	.set _ZN9rocsparseL35bsrgeam_wf_per_row_multipass_kernelILj64ELj8E21rocsparse_complex_numIdEEEv20rocsparse_direction_iiiNS_24const_host_device_scalarIT1_EEPKiS8_PKS5_S6_S8_S8_SA_S8_PiPS5_21rocsparse_index_base_SD_SD_b.uses_vcc, 1
	.set _ZN9rocsparseL35bsrgeam_wf_per_row_multipass_kernelILj64ELj8E21rocsparse_complex_numIdEEEv20rocsparse_direction_iiiNS_24const_host_device_scalarIT1_EEPKiS8_PKS5_S6_S8_S8_SA_S8_PiPS5_21rocsparse_index_base_SD_SD_b.uses_flat_scratch, 0
	.set _ZN9rocsparseL35bsrgeam_wf_per_row_multipass_kernelILj64ELj8E21rocsparse_complex_numIdEEEv20rocsparse_direction_iiiNS_24const_host_device_scalarIT1_EEPKiS8_PKS5_S6_S8_S8_SA_S8_PiPS5_21rocsparse_index_base_SD_SD_b.has_dyn_sized_stack, 0
	.set _ZN9rocsparseL35bsrgeam_wf_per_row_multipass_kernelILj64ELj8E21rocsparse_complex_numIdEEEv20rocsparse_direction_iiiNS_24const_host_device_scalarIT1_EEPKiS8_PKS5_S6_S8_S8_SA_S8_PiPS5_21rocsparse_index_base_SD_SD_b.has_recursion, 0
	.set _ZN9rocsparseL35bsrgeam_wf_per_row_multipass_kernelILj64ELj8E21rocsparse_complex_numIdEEEv20rocsparse_direction_iiiNS_24const_host_device_scalarIT1_EEPKiS8_PKS5_S6_S8_S8_SA_S8_PiPS5_21rocsparse_index_base_SD_SD_b.has_indirect_call, 0
	.section	.AMDGPU.csdata,"",@progbits
; Kernel info:
; codeLenInByte = 1720
; TotalNumSgprs: 42
; NumVgprs: 46
; NumAgprs: 0
; TotalNumVgprs: 46
; ScratchSize: 16
; MemoryBound: 0
; FloatMode: 240
; IeeeMode: 1
; LDSByteSize: 1032 bytes/workgroup (compile time only)
; SGPRBlocks: 5
; VGPRBlocks: 5
; NumSGPRsForWavesPerEU: 42
; NumVGPRsForWavesPerEU: 46
; AccumOffset: 48
; Occupancy: 8
; WaveLimiterHint : 1
; COMPUTE_PGM_RSRC2:SCRATCH_EN: 1
; COMPUTE_PGM_RSRC2:USER_SGPR: 2
; COMPUTE_PGM_RSRC2:TRAP_HANDLER: 0
; COMPUTE_PGM_RSRC2:TGID_X_EN: 1
; COMPUTE_PGM_RSRC2:TGID_Y_EN: 0
; COMPUTE_PGM_RSRC2:TGID_Z_EN: 0
; COMPUTE_PGM_RSRC2:TIDIG_COMP_CNT: 0
; COMPUTE_PGM_RSRC3_GFX90A:ACCUM_OFFSET: 11
; COMPUTE_PGM_RSRC3_GFX90A:TG_SPLIT: 0
	.section	.text._ZN9rocsparseL39bsrgeam_block_per_row_multipass_kernel2ILj256ELj16E21rocsparse_complex_numIdEEEv20rocsparse_direction_iiiNS_24const_host_device_scalarIT1_EEPKiS8_PKS5_S6_S8_S8_SA_S8_PiPS5_21rocsparse_index_base_SD_SD_b,"axG",@progbits,_ZN9rocsparseL39bsrgeam_block_per_row_multipass_kernel2ILj256ELj16E21rocsparse_complex_numIdEEEv20rocsparse_direction_iiiNS_24const_host_device_scalarIT1_EEPKiS8_PKS5_S6_S8_S8_SA_S8_PiPS5_21rocsparse_index_base_SD_SD_b,comdat
	.globl	_ZN9rocsparseL39bsrgeam_block_per_row_multipass_kernel2ILj256ELj16E21rocsparse_complex_numIdEEEv20rocsparse_direction_iiiNS_24const_host_device_scalarIT1_EEPKiS8_PKS5_S6_S8_S8_SA_S8_PiPS5_21rocsparse_index_base_SD_SD_b ; -- Begin function _ZN9rocsparseL39bsrgeam_block_per_row_multipass_kernel2ILj256ELj16E21rocsparse_complex_numIdEEEv20rocsparse_direction_iiiNS_24const_host_device_scalarIT1_EEPKiS8_PKS5_S6_S8_S8_SA_S8_PiPS5_21rocsparse_index_base_SD_SD_b
	.p2align	8
	.type	_ZN9rocsparseL39bsrgeam_block_per_row_multipass_kernel2ILj256ELj16E21rocsparse_complex_numIdEEEv20rocsparse_direction_iiiNS_24const_host_device_scalarIT1_EEPKiS8_PKS5_S6_S8_S8_SA_S8_PiPS5_21rocsparse_index_base_SD_SD_b,@function
_ZN9rocsparseL39bsrgeam_block_per_row_multipass_kernel2ILj256ELj16E21rocsparse_complex_numIdEEEv20rocsparse_direction_iiiNS_24const_host_device_scalarIT1_EEPKiS8_PKS5_S6_S8_S8_SA_S8_PiPS5_21rocsparse_index_base_SD_SD_b: ; @_ZN9rocsparseL39bsrgeam_block_per_row_multipass_kernel2ILj256ELj16E21rocsparse_complex_numIdEEEv20rocsparse_direction_iiiNS_24const_host_device_scalarIT1_EEPKiS8_PKS5_S6_S8_S8_SA_S8_PiPS5_21rocsparse_index_base_SD_SD_b
; %bb.0:
	s_load_dwordx4 s[12:15], s[0:1], 0x78
	s_load_dwordx8 s[4:11], s[0:1], 0x10
	s_mov_b64 s[18:19], src_private_base
	s_waitcnt lgkmcnt(0)
	s_bitcmp1_b32 s15, 0
	s_cselect_b64 s[16:17], -1, 0
	s_and_b64 vcc, s[16:17], exec
	v_mov_b64_e32 v[2:3], s[4:5]
	s_cselect_b32 s3, s19, s5
	s_cselect_b32 s15, 0, s4
	scratch_store_dwordx2 off, v[2:3], off
	v_mov_b32_e32 v2, s15
	v_mov_b32_e32 v3, s3
	flat_load_dwordx2 v[6:7], v[2:3]
	s_load_dwordx2 s[18:19], s[0:1], 0x60
	s_load_dwordx2 s[20:21], s[0:1], 0x48
	v_mov_b64_e32 v[8:9], s[6:7]
	s_cbranch_vccnz .LBB30_2
; %bb.1:
	v_mov_b64_e32 v[2:3], s[4:5]
	flat_load_dwordx2 v[8:9], v[2:3] offset:8
.LBB30_2:
	s_load_dwordx2 s[4:5], s[0:1], 0x38
	s_add_u32 s3, s0, 56
	s_addc_u32 s15, s1, 0
	s_and_b64 s[6:7], s[16:17], exec
	s_waitcnt lgkmcnt(0)
	s_cselect_b32 s5, s15, s5
	s_cselect_b32 s3, s3, s4
	v_mov_b32_e32 v2, s3
	v_mov_b32_e32 v3, s5
	flat_load_dwordx4 v[2:5], v[2:3]
	s_ashr_i32 s3, s2, 31
	s_lshl_b64 s[4:5], s[2:3], 2
	s_add_u32 s6, s8, s4
	s_addc_u32 s7, s9, s5
	s_load_dwordx2 s[24:25], s[6:7], 0x0
	s_load_dwordx2 s[2:3], s[0:1], 0x50
	;; [unrolled: 1-line block ×3, first 2 shown]
	s_waitcnt lgkmcnt(0)
	s_sub_i32 s16, s24, s12
	s_add_u32 s6, s20, s4
	s_addc_u32 s7, s21, s5
	s_load_dwordx2 s[26:27], s[6:7], 0x0
	s_add_u32 s22, s18, s4
	s_addc_u32 s23, s19, s5
	s_cmp_ge_i32 s24, s25
	s_mov_b32 s17, s8
	s_cbranch_scc1 .LBB30_4
; %bb.3:
	s_ashr_i32 s17, s16, 31
	s_lshl_b64 s[4:5], s[16:17], 2
	s_add_u32 s4, s10, s4
	s_addc_u32 s5, s11, s5
	s_load_dword s4, s[4:5], 0x0
	s_waitcnt lgkmcnt(0)
	s_sub_i32 s17, s4, s12
.LBB30_4:
	s_load_dwordx4 s[4:7], s[0:1], 0x68
	s_load_dwordx2 s[18:19], s[0:1], 0x58
	s_load_dwordx2 s[20:21], s[0:1], 0x30
	s_load_dword s24, s[22:23], 0x0
	s_waitcnt lgkmcnt(0)
	s_sub_i32 s22, s26, s13
	s_cmp_ge_i32 s26, s27
	s_mov_b32 s23, s8
	s_cbranch_scc1 .LBB30_6
; %bb.5:
	s_ashr_i32 s23, s22, 31
	s_lshl_b64 s[28:29], s[22:23], 2
	s_add_u32 s28, s2, s28
	s_addc_u32 s29, s3, s29
	s_load_dword s15, s[28:29], 0x0
	s_waitcnt lgkmcnt(0)
	s_sub_i32 s23, s15, s13
.LBB30_6:
	s_load_dword s26, s[0:1], 0x0
	v_and_b32_e32 v10, 15, v0
	v_lshrrev_b32_e32 v12, 4, v0
	v_cmp_gt_u32_e32 vcc, s9, v10
	v_cmp_gt_i32_e64 s[0:1], s9, v12
	s_sub_i32 s15, s25, s12
	s_sub_i32 s33, s27, s13
	;; [unrolled: 1-line block ×3, first 2 shown]
	s_min_i32 s25, s23, s17
	s_and_b64 s[0:1], vcc, s[0:1]
	v_lshlrev_b32_e32 v1, 8, v10
	s_movk_i32 s17, 0xf0
	s_waitcnt lgkmcnt(0)
	s_cmp_lg_u32 s26, 0
	v_and_or_b32 v13, v0, s17, v1
	v_mov_b32_e32 v1, 0
	v_lshlrev_b32_e32 v11, 4, v0
	s_cselect_b64 s[26:27], -1, 0
	s_mul_i32 s38, s9, s9
	v_mov_b32_e32 v20, v1
	v_mov_b32_e32 v21, v1
	;; [unrolled: 1-line block ×5, first 2 shown]
	s_branch .LBB30_9
.LBB30_7:                               ;   in Loop: Header=BB30_9 Depth=1
	s_or_b64 exec, exec, s[28:29]
.LBB30_8:                               ;   in Loop: Header=BB30_9 Depth=1
	s_barrier
	ds_read_b32 v0, v1 offset:4096
	s_mov_b32 s25, s36
	s_waitcnt lgkmcnt(0)
	s_barrier
	v_readfirstlane_b32 s17, v0
	s_add_i32 s24, s17, s24
	s_cmp_lt_i32 s36, s8
	s_cbranch_scc0 .LBB30_47
.LBB30_9:                               ; =>This Loop Header: Depth=1
                                        ;     Child Loop BB30_11 Depth 2
                                        ;     Child Loop BB30_27 Depth 2
	s_cmp_ge_i32 s16, s15
	ds_write_b32 v1, v1 offset:4096
	ds_write_b128 v11, v[20:23]
	s_waitcnt lgkmcnt(0)
	s_barrier
	s_cbranch_scc1 .LBB30_24
; %bb.10:                               ;   in Loop: Header=BB30_9 Depth=1
	s_mul_i32 s17, s9, s16
	v_add_u32_e32 v0, s17, v12
	v_mad_u64_u32 v[14:15], s[28:29], s9, v0, v[10:11]
	v_add_u32_e32 v0, s17, v10
	v_mad_u64_u32 v[16:17], s[28:29], s9, v0, v[12:13]
	s_ashr_i32 s17, s16, 31
	s_lshl_b64 s[28:29], s[16:17], 2
	s_add_u32 s28, s10, s28
	s_addc_u32 s29, s11, s29
	s_mov_b32 s23, 0
	s_mov_b32 s39, s8
.LBB30_11:                              ;   Parent Loop BB30_9 Depth=1
                                        ; =>  This Inner Loop Header: Depth=2
	global_load_dword v0, v1, s[28:29]
	s_mov_b64 s[34:35], -1
	s_waitcnt vmcnt(0)
	v_readfirstlane_b32 s17, v0
	s_sub_i32 s36, s17, s12
	s_cmp_eq_u32 s36, s25
	s_cselect_b64 s[30:31], -1, 0
	s_cmp_lg_u32 s36, s25
                                        ; implicit-def: $sgpr17
	s_cbranch_scc1 .LBB30_15
; %bb.12:                               ;   in Loop: Header=BB30_11 Depth=2
	s_andn2_b64 vcc, exec, s[34:35]
	s_cbranch_vccz .LBB30_16
.LBB30_13:                              ;   in Loop: Header=BB30_11 Depth=2
	s_andn2_b64 vcc, exec, s[30:31]
	s_mov_b64 s[30:31], -1
	s_cbranch_vccnz .LBB30_21
.LBB30_14:                              ;   in Loop: Header=BB30_11 Depth=2
	s_add_i32 s16, s16, 1
	s_add_i32 s23, s23, s38
	s_add_u32 s28, s28, 4
	s_addc_u32 s29, s29, 0
	s_cmp_ge_i32 s16, s15
	s_cselect_b64 s[30:31], -1, 0
	s_andn2_b64 vcc, exec, s[30:31]
	s_cbranch_vccnz .LBB30_22
	s_branch .LBB30_25
.LBB30_15:                              ;   in Loop: Header=BB30_11 Depth=2
	s_min_i32 s17, s36, s39
	s_cbranch_execnz .LBB30_13
.LBB30_16:                              ;   in Loop: Header=BB30_11 Depth=2
	ds_write_b32 v1, v18 offset:4096
	s_and_saveexec_b64 s[34:35], s[0:1]
	s_cbranch_execz .LBB30_20
; %bb.17:                               ;   in Loop: Header=BB30_11 Depth=2
	s_and_b64 vcc, exec, s[26:27]
	s_cbranch_vccz .LBB30_23
; %bb.18:                               ;   in Loop: Header=BB30_11 Depth=2
	v_add_u32_e32 v0, s23, v16
	v_lshl_add_u64 v[24:25], v[0:1], 4, s[20:21]
	global_load_dwordx4 v[24:27], v[24:25], off
	s_waitcnt vmcnt(0)
	v_mul_f64 v[28:29], v[26:27], -v[8:9]
	v_mul_f64 v[30:31], v[6:7], v[26:27]
	v_fmac_f64_e32 v[28:29], v[6:7], v[24:25]
	v_fmac_f64_e32 v[30:31], v[8:9], v[24:25]
	ds_write_b128 v13, v[28:31]
	s_cbranch_execnz .LBB30_20
.LBB30_19:                              ;   in Loop: Header=BB30_11 Depth=2
	v_add_u32_e32 v0, s23, v14
	v_lshl_add_u64 v[24:25], v[0:1], 4, s[20:21]
	global_load_dwordx4 v[24:27], v[24:25], off
	s_waitcnt vmcnt(0)
	v_mul_f64 v[28:29], v[26:27], -v[8:9]
	v_mul_f64 v[30:31], v[6:7], v[26:27]
	v_fmac_f64_e32 v[28:29], v[6:7], v[24:25]
	v_fmac_f64_e32 v[30:31], v[8:9], v[24:25]
	ds_write_b128 v11, v[28:31]
.LBB30_20:                              ;   in Loop: Header=BB30_11 Depth=2
	s_or_b64 exec, exec, s[34:35]
	s_mov_b32 s17, s39
	s_andn2_b64 vcc, exec, s[30:31]
	s_mov_b64 s[30:31], -1
	s_cbranch_vccz .LBB30_14
.LBB30_21:                              ;   in Loop: Header=BB30_11 Depth=2
                                        ; implicit-def: $sgpr23
                                        ; implicit-def: $sgpr28_sgpr29
	s_andn2_b64 vcc, exec, s[30:31]
	s_cbranch_vccz .LBB30_25
.LBB30_22:                              ;   in Loop: Header=BB30_11 Depth=2
	s_mov_b32 s39, s17
	s_branch .LBB30_11
.LBB30_23:                              ;   in Loop: Header=BB30_11 Depth=2
	s_branch .LBB30_19
.LBB30_24:                              ;   in Loop: Header=BB30_9 Depth=1
	s_mov_b32 s17, s8
.LBB30_25:                              ;   in Loop: Header=BB30_9 Depth=1
	s_cmp_ge_i32 s22, s33
	s_waitcnt lgkmcnt(0)
	s_barrier
	s_cbranch_scc1 .LBB30_40
; %bb.26:                               ;   in Loop: Header=BB30_9 Depth=1
	s_mul_i32 s23, s9, s22
	v_add_u32_e32 v0, s23, v12
	v_mad_u64_u32 v[14:15], s[28:29], s9, v0, v[10:11]
	v_add_u32_e32 v0, s23, v10
	v_mad_u64_u32 v[16:17], s[28:29], s9, v0, v[12:13]
	s_ashr_i32 s23, s22, 31
	s_lshl_b64 s[28:29], s[22:23], 2
	s_add_u32 s28, s2, s28
	s_addc_u32 s29, s3, s29
	s_mov_b32 s23, 0
.LBB30_27:                              ;   Parent Loop BB30_9 Depth=1
                                        ; =>  This Inner Loop Header: Depth=2
	global_load_dword v0, v1, s[28:29]
	s_mov_b64 s[34:35], -1
                                        ; implicit-def: $sgpr36
	s_waitcnt vmcnt(0)
	v_readfirstlane_b32 s30, v0
	s_sub_i32 s37, s30, s13
	s_cmp_eq_u32 s37, s25
	s_cselect_b64 s[30:31], -1, 0
	s_cmp_lg_u32 s37, s25
	s_cbranch_scc1 .LBB30_31
; %bb.28:                               ;   in Loop: Header=BB30_27 Depth=2
	s_andn2_b64 vcc, exec, s[34:35]
	s_cbranch_vccz .LBB30_32
.LBB30_29:                              ;   in Loop: Header=BB30_27 Depth=2
	s_andn2_b64 vcc, exec, s[30:31]
	s_mov_b64 s[30:31], -1
	s_cbranch_vccnz .LBB30_37
.LBB30_30:                              ;   in Loop: Header=BB30_27 Depth=2
	s_add_i32 s22, s22, 1
	s_add_i32 s23, s23, s38
	s_add_u32 s28, s28, 4
	s_addc_u32 s29, s29, 0
	s_cmp_ge_i32 s22, s33
	s_cselect_b64 s[30:31], -1, 0
	s_andn2_b64 vcc, exec, s[30:31]
	s_cbranch_vccnz .LBB30_38
	s_branch .LBB30_41
.LBB30_31:                              ;   in Loop: Header=BB30_27 Depth=2
	s_min_i32 s36, s37, s17
	s_cbranch_execnz .LBB30_29
.LBB30_32:                              ;   in Loop: Header=BB30_27 Depth=2
	ds_write_b32 v1, v18 offset:4096
	s_and_saveexec_b64 s[34:35], s[0:1]
	s_cbranch_execz .LBB30_36
; %bb.33:                               ;   in Loop: Header=BB30_27 Depth=2
	s_and_b64 vcc, exec, s[26:27]
	s_cbranch_vccz .LBB30_39
; %bb.34:                               ;   in Loop: Header=BB30_27 Depth=2
	v_add_u32_e32 v0, s23, v16
	v_lshl_add_u64 v[24:25], v[0:1], 4, s[18:19]
	global_load_dwordx4 v[24:27], v[24:25], off
	ds_read_b128 v[28:31], v13
	s_waitcnt vmcnt(0) lgkmcnt(0)
	v_fmac_f64_e32 v[28:29], v[2:3], v[24:25]
	v_fmac_f64_e32 v[30:31], v[4:5], v[24:25]
	v_fma_f64 v[28:29], -v[4:5], v[26:27], v[28:29]
	v_fmac_f64_e32 v[30:31], v[2:3], v[26:27]
	ds_write_b128 v13, v[28:31]
	s_cbranch_execnz .LBB30_36
.LBB30_35:                              ;   in Loop: Header=BB30_27 Depth=2
	v_add_u32_e32 v0, s23, v14
	v_lshl_add_u64 v[24:25], v[0:1], 4, s[18:19]
	global_load_dwordx4 v[24:27], v[24:25], off
	ds_read_b128 v[28:31], v11
	s_waitcnt vmcnt(0) lgkmcnt(0)
	v_fmac_f64_e32 v[28:29], v[2:3], v[24:25]
	v_fmac_f64_e32 v[30:31], v[4:5], v[24:25]
	v_fma_f64 v[28:29], -v[4:5], v[26:27], v[28:29]
	v_fmac_f64_e32 v[30:31], v[2:3], v[26:27]
	ds_write_b128 v11, v[28:31]
.LBB30_36:                              ;   in Loop: Header=BB30_27 Depth=2
	s_or_b64 exec, exec, s[34:35]
	s_mov_b32 s36, s17
	s_andn2_b64 vcc, exec, s[30:31]
	s_mov_b64 s[30:31], -1
	s_cbranch_vccz .LBB30_30
.LBB30_37:                              ;   in Loop: Header=BB30_27 Depth=2
                                        ; implicit-def: $sgpr23
                                        ; implicit-def: $sgpr28_sgpr29
	s_andn2_b64 vcc, exec, s[30:31]
	s_cbranch_vccz .LBB30_41
.LBB30_38:                              ;   in Loop: Header=BB30_27 Depth=2
	s_mov_b32 s17, s36
	s_branch .LBB30_27
.LBB30_39:                              ;   in Loop: Header=BB30_27 Depth=2
	s_branch .LBB30_35
.LBB30_40:                              ;   in Loop: Header=BB30_9 Depth=1
	s_mov_b32 s36, s17
.LBB30_41:                              ;   in Loop: Header=BB30_9 Depth=1
	s_waitcnt lgkmcnt(0)
	s_barrier
	ds_read_b32 v0, v1 offset:4096
	s_waitcnt lgkmcnt(0)
	v_cmp_eq_u32_e32 vcc, 0, v0
	s_cbranch_vccnz .LBB30_8
; %bb.42:                               ;   in Loop: Header=BB30_9 Depth=1
	s_add_i32 s17, s25, s14
	s_ashr_i32 s25, s24, 31
	s_lshl_b64 s[28:29], s[24:25], 2
	s_add_u32 s28, s4, s28
	s_addc_u32 s29, s5, s29
	v_mov_b32_e32 v0, s17
	global_store_dword v1, v0, s[28:29]
	s_and_saveexec_b64 s[28:29], s[0:1]
	s_cbranch_execz .LBB30_7
; %bb.43:                               ;   in Loop: Header=BB30_9 Depth=1
	s_mul_i32 s17, s24, s9
	s_and_b64 vcc, exec, s[26:27]
	s_cbranch_vccz .LBB30_45
; %bb.44:                               ;   in Loop: Header=BB30_9 Depth=1
	ds_read2_b64 v[14:17], v13 offset1:1
	v_add_u32_e32 v0, s17, v10
	v_mad_u64_u32 v[24:25], s[30:31], v0, s9, v[12:13]
	v_mov_b32_e32 v25, v1
	v_lshl_add_u64 v[24:25], v[24:25], 4, s[6:7]
	s_waitcnt lgkmcnt(0)
	global_store_dwordx4 v[24:25], v[14:17], off
	s_cbranch_execnz .LBB30_7
	s_branch .LBB30_46
.LBB30_45:                              ;   in Loop: Header=BB30_9 Depth=1
.LBB30_46:                              ;   in Loop: Header=BB30_9 Depth=1
	ds_read2_b64 v[14:17], v11 offset1:1
	v_add_u32_e32 v0, s17, v12
	v_mad_u64_u32 v[24:25], s[30:31], v0, s9, v[10:11]
	v_mov_b32_e32 v25, v1
	v_lshl_add_u64 v[24:25], v[24:25], 4, s[6:7]
	s_waitcnt lgkmcnt(0)
	global_store_dwordx4 v[24:25], v[14:17], off
	s_branch .LBB30_7
.LBB30_47:
	s_endpgm
	.section	.rodata,"a",@progbits
	.p2align	6, 0x0
	.amdhsa_kernel _ZN9rocsparseL39bsrgeam_block_per_row_multipass_kernel2ILj256ELj16E21rocsparse_complex_numIdEEEv20rocsparse_direction_iiiNS_24const_host_device_scalarIT1_EEPKiS8_PKS5_S6_S8_S8_SA_S8_PiPS5_21rocsparse_index_base_SD_SD_b
		.amdhsa_group_segment_fixed_size 4104
		.amdhsa_private_segment_fixed_size 16
		.amdhsa_kernarg_size 136
		.amdhsa_user_sgpr_count 2
		.amdhsa_user_sgpr_dispatch_ptr 0
		.amdhsa_user_sgpr_queue_ptr 0
		.amdhsa_user_sgpr_kernarg_segment_ptr 1
		.amdhsa_user_sgpr_dispatch_id 0
		.amdhsa_user_sgpr_kernarg_preload_length 0
		.amdhsa_user_sgpr_kernarg_preload_offset 0
		.amdhsa_user_sgpr_private_segment_size 0
		.amdhsa_uses_dynamic_stack 0
		.amdhsa_enable_private_segment 1
		.amdhsa_system_sgpr_workgroup_id_x 1
		.amdhsa_system_sgpr_workgroup_id_y 0
		.amdhsa_system_sgpr_workgroup_id_z 0
		.amdhsa_system_sgpr_workgroup_info 0
		.amdhsa_system_vgpr_workitem_id 0
		.amdhsa_next_free_vgpr 32
		.amdhsa_next_free_sgpr 40
		.amdhsa_accum_offset 32
		.amdhsa_reserve_vcc 1
		.amdhsa_float_round_mode_32 0
		.amdhsa_float_round_mode_16_64 0
		.amdhsa_float_denorm_mode_32 3
		.amdhsa_float_denorm_mode_16_64 3
		.amdhsa_dx10_clamp 1
		.amdhsa_ieee_mode 1
		.amdhsa_fp16_overflow 0
		.amdhsa_tg_split 0
		.amdhsa_exception_fp_ieee_invalid_op 0
		.amdhsa_exception_fp_denorm_src 0
		.amdhsa_exception_fp_ieee_div_zero 0
		.amdhsa_exception_fp_ieee_overflow 0
		.amdhsa_exception_fp_ieee_underflow 0
		.amdhsa_exception_fp_ieee_inexact 0
		.amdhsa_exception_int_div_zero 0
	.end_amdhsa_kernel
	.section	.text._ZN9rocsparseL39bsrgeam_block_per_row_multipass_kernel2ILj256ELj16E21rocsparse_complex_numIdEEEv20rocsparse_direction_iiiNS_24const_host_device_scalarIT1_EEPKiS8_PKS5_S6_S8_S8_SA_S8_PiPS5_21rocsparse_index_base_SD_SD_b,"axG",@progbits,_ZN9rocsparseL39bsrgeam_block_per_row_multipass_kernel2ILj256ELj16E21rocsparse_complex_numIdEEEv20rocsparse_direction_iiiNS_24const_host_device_scalarIT1_EEPKiS8_PKS5_S6_S8_S8_SA_S8_PiPS5_21rocsparse_index_base_SD_SD_b,comdat
.Lfunc_end30:
	.size	_ZN9rocsparseL39bsrgeam_block_per_row_multipass_kernel2ILj256ELj16E21rocsparse_complex_numIdEEEv20rocsparse_direction_iiiNS_24const_host_device_scalarIT1_EEPKiS8_PKS5_S6_S8_S8_SA_S8_PiPS5_21rocsparse_index_base_SD_SD_b, .Lfunc_end30-_ZN9rocsparseL39bsrgeam_block_per_row_multipass_kernel2ILj256ELj16E21rocsparse_complex_numIdEEEv20rocsparse_direction_iiiNS_24const_host_device_scalarIT1_EEPKiS8_PKS5_S6_S8_S8_SA_S8_PiPS5_21rocsparse_index_base_SD_SD_b
                                        ; -- End function
	.set _ZN9rocsparseL39bsrgeam_block_per_row_multipass_kernel2ILj256ELj16E21rocsparse_complex_numIdEEEv20rocsparse_direction_iiiNS_24const_host_device_scalarIT1_EEPKiS8_PKS5_S6_S8_S8_SA_S8_PiPS5_21rocsparse_index_base_SD_SD_b.num_vgpr, 32
	.set _ZN9rocsparseL39bsrgeam_block_per_row_multipass_kernel2ILj256ELj16E21rocsparse_complex_numIdEEEv20rocsparse_direction_iiiNS_24const_host_device_scalarIT1_EEPKiS8_PKS5_S6_S8_S8_SA_S8_PiPS5_21rocsparse_index_base_SD_SD_b.num_agpr, 0
	.set _ZN9rocsparseL39bsrgeam_block_per_row_multipass_kernel2ILj256ELj16E21rocsparse_complex_numIdEEEv20rocsparse_direction_iiiNS_24const_host_device_scalarIT1_EEPKiS8_PKS5_S6_S8_S8_SA_S8_PiPS5_21rocsparse_index_base_SD_SD_b.numbered_sgpr, 40
	.set _ZN9rocsparseL39bsrgeam_block_per_row_multipass_kernel2ILj256ELj16E21rocsparse_complex_numIdEEEv20rocsparse_direction_iiiNS_24const_host_device_scalarIT1_EEPKiS8_PKS5_S6_S8_S8_SA_S8_PiPS5_21rocsparse_index_base_SD_SD_b.num_named_barrier, 0
	.set _ZN9rocsparseL39bsrgeam_block_per_row_multipass_kernel2ILj256ELj16E21rocsparse_complex_numIdEEEv20rocsparse_direction_iiiNS_24const_host_device_scalarIT1_EEPKiS8_PKS5_S6_S8_S8_SA_S8_PiPS5_21rocsparse_index_base_SD_SD_b.private_seg_size, 16
	.set _ZN9rocsparseL39bsrgeam_block_per_row_multipass_kernel2ILj256ELj16E21rocsparse_complex_numIdEEEv20rocsparse_direction_iiiNS_24const_host_device_scalarIT1_EEPKiS8_PKS5_S6_S8_S8_SA_S8_PiPS5_21rocsparse_index_base_SD_SD_b.uses_vcc, 1
	.set _ZN9rocsparseL39bsrgeam_block_per_row_multipass_kernel2ILj256ELj16E21rocsparse_complex_numIdEEEv20rocsparse_direction_iiiNS_24const_host_device_scalarIT1_EEPKiS8_PKS5_S6_S8_S8_SA_S8_PiPS5_21rocsparse_index_base_SD_SD_b.uses_flat_scratch, 0
	.set _ZN9rocsparseL39bsrgeam_block_per_row_multipass_kernel2ILj256ELj16E21rocsparse_complex_numIdEEEv20rocsparse_direction_iiiNS_24const_host_device_scalarIT1_EEPKiS8_PKS5_S6_S8_S8_SA_S8_PiPS5_21rocsparse_index_base_SD_SD_b.has_dyn_sized_stack, 0
	.set _ZN9rocsparseL39bsrgeam_block_per_row_multipass_kernel2ILj256ELj16E21rocsparse_complex_numIdEEEv20rocsparse_direction_iiiNS_24const_host_device_scalarIT1_EEPKiS8_PKS5_S6_S8_S8_SA_S8_PiPS5_21rocsparse_index_base_SD_SD_b.has_recursion, 0
	.set _ZN9rocsparseL39bsrgeam_block_per_row_multipass_kernel2ILj256ELj16E21rocsparse_complex_numIdEEEv20rocsparse_direction_iiiNS_24const_host_device_scalarIT1_EEPKiS8_PKS5_S6_S8_S8_SA_S8_PiPS5_21rocsparse_index_base_SD_SD_b.has_indirect_call, 0
	.section	.AMDGPU.csdata,"",@progbits
; Kernel info:
; codeLenInByte = 1428
; TotalNumSgprs: 46
; NumVgprs: 32
; NumAgprs: 0
; TotalNumVgprs: 32
; ScratchSize: 16
; MemoryBound: 0
; FloatMode: 240
; IeeeMode: 1
; LDSByteSize: 4104 bytes/workgroup (compile time only)
; SGPRBlocks: 5
; VGPRBlocks: 3
; NumSGPRsForWavesPerEU: 46
; NumVGPRsForWavesPerEU: 32
; AccumOffset: 32
; Occupancy: 8
; WaveLimiterHint : 1
; COMPUTE_PGM_RSRC2:SCRATCH_EN: 1
; COMPUTE_PGM_RSRC2:USER_SGPR: 2
; COMPUTE_PGM_RSRC2:TRAP_HANDLER: 0
; COMPUTE_PGM_RSRC2:TGID_X_EN: 1
; COMPUTE_PGM_RSRC2:TGID_Y_EN: 0
; COMPUTE_PGM_RSRC2:TGID_Z_EN: 0
; COMPUTE_PGM_RSRC2:TIDIG_COMP_CNT: 0
; COMPUTE_PGM_RSRC3_GFX90A:ACCUM_OFFSET: 7
; COMPUTE_PGM_RSRC3_GFX90A:TG_SPLIT: 0
	.section	.text._ZN9rocsparseL39bsrgeam_block_per_row_multipass_kernel2ILj256ELj32E21rocsparse_complex_numIdEEEv20rocsparse_direction_iiiNS_24const_host_device_scalarIT1_EEPKiS8_PKS5_S6_S8_S8_SA_S8_PiPS5_21rocsparse_index_base_SD_SD_b,"axG",@progbits,_ZN9rocsparseL39bsrgeam_block_per_row_multipass_kernel2ILj256ELj32E21rocsparse_complex_numIdEEEv20rocsparse_direction_iiiNS_24const_host_device_scalarIT1_EEPKiS8_PKS5_S6_S8_S8_SA_S8_PiPS5_21rocsparse_index_base_SD_SD_b,comdat
	.globl	_ZN9rocsparseL39bsrgeam_block_per_row_multipass_kernel2ILj256ELj32E21rocsparse_complex_numIdEEEv20rocsparse_direction_iiiNS_24const_host_device_scalarIT1_EEPKiS8_PKS5_S6_S8_S8_SA_S8_PiPS5_21rocsparse_index_base_SD_SD_b ; -- Begin function _ZN9rocsparseL39bsrgeam_block_per_row_multipass_kernel2ILj256ELj32E21rocsparse_complex_numIdEEEv20rocsparse_direction_iiiNS_24const_host_device_scalarIT1_EEPKiS8_PKS5_S6_S8_S8_SA_S8_PiPS5_21rocsparse_index_base_SD_SD_b
	.p2align	8
	.type	_ZN9rocsparseL39bsrgeam_block_per_row_multipass_kernel2ILj256ELj32E21rocsparse_complex_numIdEEEv20rocsparse_direction_iiiNS_24const_host_device_scalarIT1_EEPKiS8_PKS5_S6_S8_S8_SA_S8_PiPS5_21rocsparse_index_base_SD_SD_b,@function
_ZN9rocsparseL39bsrgeam_block_per_row_multipass_kernel2ILj256ELj32E21rocsparse_complex_numIdEEEv20rocsparse_direction_iiiNS_24const_host_device_scalarIT1_EEPKiS8_PKS5_S6_S8_S8_SA_S8_PiPS5_21rocsparse_index_base_SD_SD_b: ; @_ZN9rocsparseL39bsrgeam_block_per_row_multipass_kernel2ILj256ELj32E21rocsparse_complex_numIdEEEv20rocsparse_direction_iiiNS_24const_host_device_scalarIT1_EEPKiS8_PKS5_S6_S8_S8_SA_S8_PiPS5_21rocsparse_index_base_SD_SD_b
; %bb.0:
	s_load_dwordx4 s[12:15], s[0:1], 0x78
	s_load_dwordx8 s[4:11], s[0:1], 0x10
	s_mov_b64 s[18:19], src_private_base
	s_waitcnt lgkmcnt(0)
	s_bitcmp1_b32 s15, 0
	s_cselect_b64 s[16:17], -1, 0
	s_and_b64 vcc, s[16:17], exec
	v_mov_b64_e32 v[2:3], s[4:5]
	s_cselect_b32 s3, s19, s5
	s_cselect_b32 s15, 0, s4
	scratch_store_dwordx2 off, v[2:3], off
	v_mov_b32_e32 v2, s15
	v_mov_b32_e32 v3, s3
	flat_load_dwordx2 v[6:7], v[2:3]
	s_load_dwordx2 s[18:19], s[0:1], 0x60
	s_load_dwordx2 s[20:21], s[0:1], 0x48
	v_mov_b64_e32 v[8:9], s[6:7]
	s_cbranch_vccnz .LBB31_2
; %bb.1:
	v_mov_b64_e32 v[2:3], s[4:5]
	flat_load_dwordx2 v[8:9], v[2:3] offset:8
.LBB31_2:
	s_load_dwordx2 s[4:5], s[0:1], 0x38
	s_add_u32 s3, s0, 56
	s_addc_u32 s15, s1, 0
	s_and_b64 s[6:7], s[16:17], exec
	s_waitcnt lgkmcnt(0)
	s_cselect_b32 s5, s15, s5
	s_cselect_b32 s3, s3, s4
	v_mov_b32_e32 v2, s3
	v_mov_b32_e32 v3, s5
	flat_load_dwordx4 v[2:5], v[2:3]
	s_ashr_i32 s3, s2, 31
	s_lshl_b64 s[4:5], s[2:3], 2
	s_add_u32 s6, s8, s4
	s_addc_u32 s7, s9, s5
	s_load_dwordx2 s[24:25], s[6:7], 0x0
	s_load_dwordx2 s[2:3], s[0:1], 0x50
	;; [unrolled: 1-line block ×3, first 2 shown]
	s_waitcnt lgkmcnt(0)
	s_sub_i32 s16, s24, s12
	s_add_u32 s6, s20, s4
	s_addc_u32 s7, s21, s5
	s_load_dwordx2 s[26:27], s[6:7], 0x0
	s_add_u32 s22, s18, s4
	s_addc_u32 s23, s19, s5
	s_cmp_ge_i32 s24, s25
	s_mov_b32 s17, s8
	s_cbranch_scc1 .LBB31_4
; %bb.3:
	s_ashr_i32 s17, s16, 31
	s_lshl_b64 s[4:5], s[16:17], 2
	s_add_u32 s4, s10, s4
	s_addc_u32 s5, s11, s5
	s_load_dword s4, s[4:5], 0x0
	s_waitcnt lgkmcnt(0)
	s_sub_i32 s17, s4, s12
.LBB31_4:
	s_load_dwordx4 s[4:7], s[0:1], 0x68
	s_load_dwordx2 s[18:19], s[0:1], 0x58
	s_load_dwordx2 s[20:21], s[0:1], 0x30
	s_load_dword s24, s[22:23], 0x0
	s_waitcnt lgkmcnt(0)
	s_sub_i32 s22, s26, s13
	s_cmp_ge_i32 s26, s27
	s_mov_b32 s23, s8
	s_cbranch_scc1 .LBB31_6
; %bb.5:
	s_ashr_i32 s23, s22, 31
	s_lshl_b64 s[28:29], s[22:23], 2
	s_add_u32 s28, s2, s28
	s_addc_u32 s29, s3, s29
	s_load_dword s15, s[28:29], 0x0
	s_waitcnt lgkmcnt(0)
	s_sub_i32 s23, s15, s13
.LBB31_6:
	s_load_dword s0, s[0:1], 0x0
	v_and_b32_e32 v10, 7, v0
	v_lshrrev_b32_e32 v0, 3, v0
	s_sub_i32 s15, s25, s12
	s_sub_i32 s33, s27, s13
	;; [unrolled: 1-line block ×3, first 2 shown]
	s_min_i32 s25, s23, s17
	v_lshlrev_b32_e32 v11, 9, v0
	s_movk_i32 s1, 0xfe10
	v_cmp_gt_i32_e32 vcc, s9, v0
	v_mad_i32_i24 v12, v0, s1, v11
	s_waitcnt lgkmcnt(0)
	s_cmp_lg_u32 s0, 0
	v_cmp_gt_u32_e64 s[0:1], s9, v10
	v_or_b32_e32 v27, 8, v10
	s_mov_b32 s40, 0
	s_cselect_b64 s[26:27], -1, 0
	s_and_b64 s[28:29], vcc, s[0:1]
	v_cmp_gt_u32_e64 s[0:1], s9, v27
	v_or_b32_e32 v29, 16, v10
	s_and_b64 s[30:31], vcc, s[0:1]
	v_cmp_gt_u32_e64 s[0:1], s9, v29
	v_or_b32_e32 v31, 24, v10
	s_mov_b32 s41, s40
	v_lshl_or_b32 v1, v10, 4, v11
	v_lshl_add_u32 v26, v10, 9, v12
	v_lshl_add_u32 v28, v27, 9, v12
	s_and_b64 s[34:35], vcc, s[0:1]
	v_lshl_add_u32 v30, v29, 9, v12
	v_cmp_gt_u32_e64 s[0:1], s9, v31
	v_lshl_add_u32 v32, v31, 9, v12
	s_mov_b32 s42, s40
	s_mov_b32 s43, s40
	v_mov_b64_e32 v[34:35], s[40:41]
	v_cndmask_b32_e64 v12, 0, 1, s[26:27]
	v_or_b32_e32 v11, 0x80, v1
	v_or_b32_e32 v24, 0x100, v1
	;; [unrolled: 1-line block ×3, first 2 shown]
	s_and_b64 s[36:37], vcc, s[0:1]
	s_mul_i32 s46, s9, s9
	v_mov_b32_e32 v13, 0
	v_mov_b64_e32 v[36:37], s[42:43]
	v_mov_b32_e32 v33, 1
	v_cmp_ne_u32_e64 s[0:1], 1, v12
	s_branch .LBB31_10
.LBB31_7:                               ;   in Loop: Header=BB31_10 Depth=1
	ds_read2_b64 v[14:17], v15 offset1:1
	v_lshl_add_u64 v[18:19], v[12:13], 4, s[6:7]
	s_waitcnt lgkmcnt(0)
	global_store_dwordx4 v[18:19], v[14:17], off
.LBB31_8:                               ;   in Loop: Header=BB31_10 Depth=1
	s_or_b64 exec, exec, s[38:39]
.LBB31_9:                               ;   in Loop: Header=BB31_10 Depth=1
	s_barrier
	ds_read_b32 v12, v13 offset:16384
	s_mov_b32 s25, s44
	s_waitcnt lgkmcnt(0)
	s_barrier
	v_readfirstlane_b32 s17, v12
	s_add_i32 s24, s17, s24
	s_cmp_lt_i32 s44, s8
	s_cbranch_scc0 .LBB31_96
.LBB31_10:                              ; =>This Loop Header: Depth=1
                                        ;     Child Loop BB31_12 Depth 2
                                        ;     Child Loop BB31_43 Depth 2
	s_cmp_ge_i32 s16, s15
	ds_write_b32 v13, v13 offset:16384
	ds_write_b128 v1, v[34:37]
	ds_write_b128 v1, v[34:37] offset:128
	ds_write_b128 v1, v[34:37] offset:256
	;; [unrolled: 1-line block ×3, first 2 shown]
	s_waitcnt lgkmcnt(0)
	s_barrier
	s_cbranch_scc1 .LBB31_40
; %bb.11:                               ;   in Loop: Header=BB31_10 Depth=1
	s_mul_i32 s17, s9, s16
	v_add_u32_e32 v12, s17, v10
	v_mad_u64_u32 v[14:15], s[38:39], s9, v12, v[0:1]
	v_add_u32_e32 v12, s17, v27
	v_mad_u64_u32 v[16:17], s[38:39], s9, v12, v[0:1]
	v_add_u32_e32 v12, s17, v29
	v_mad_u64_u32 v[18:19], s[38:39], s9, v12, v[0:1]
	v_add_u32_e32 v12, s17, v31
	v_mad_u64_u32 v[20:21], s[38:39], s9, v12, v[0:1]
	v_add_u32_e32 v12, s17, v0
	v_mad_u64_u32 v[22:23], s[38:39], s9, v12, v[10:11]
	s_ashr_i32 s17, s16, 31
	s_lshl_b64 s[38:39], s[16:17], 2
	s_add_u32 s38, s10, s38
	s_addc_u32 s39, s11, s39
	s_mov_b32 s23, 0
	s_mov_b32 s47, s8
.LBB31_12:                              ;   Parent Loop BB31_10 Depth=1
                                        ; =>  This Inner Loop Header: Depth=2
	global_load_dword v12, v13, s[38:39]
	s_mov_b64 s[42:43], -1
	s_waitcnt vmcnt(0)
	v_readfirstlane_b32 s17, v12
	s_sub_i32 s44, s17, s12
	s_cmp_eq_u32 s44, s25
	s_cselect_b64 s[40:41], -1, 0
	s_cmp_lg_u32 s44, s25
                                        ; implicit-def: $sgpr17
	s_cbranch_scc1 .LBB31_16
; %bb.13:                               ;   in Loop: Header=BB31_12 Depth=2
	s_andn2_b64 vcc, exec, s[42:43]
	s_cbranch_vccz .LBB31_17
.LBB31_14:                              ;   in Loop: Header=BB31_12 Depth=2
	s_andn2_b64 vcc, exec, s[40:41]
	s_mov_b64 s[40:41], -1
	s_cbranch_vccnz .LBB31_34
.LBB31_15:                              ;   in Loop: Header=BB31_12 Depth=2
	s_add_i32 s16, s16, 1
	s_add_i32 s23, s23, s46
	s_add_u32 s38, s38, 4
	s_addc_u32 s39, s39, 0
	s_cmp_ge_i32 s16, s15
	s_cselect_b64 s[40:41], -1, 0
	s_andn2_b64 vcc, exec, s[40:41]
	s_cbranch_vccnz .LBB31_35
	s_branch .LBB31_41
.LBB31_16:                              ;   in Loop: Header=BB31_12 Depth=2
	s_min_i32 s17, s44, s47
	s_cbranch_execnz .LBB31_14
.LBB31_17:                              ;   in Loop: Header=BB31_12 Depth=2
	ds_write_b32 v13, v33 offset:16384
	s_and_saveexec_b64 s[42:43], s[28:29]
	s_cbranch_execz .LBB31_21
; %bb.18:                               ;   in Loop: Header=BB31_12 Depth=2
	s_and_b64 vcc, exec, s[26:27]
	s_cbranch_vccz .LBB31_36
; %bb.19:                               ;   in Loop: Header=BB31_12 Depth=2
	v_add_u32_e32 v12, s23, v14
	v_lshl_add_u64 v[38:39], v[12:13], 4, s[20:21]
	global_load_dwordx4 v[38:41], v[38:39], off
	s_waitcnt vmcnt(0)
	v_mul_f64 v[42:43], v[40:41], -v[8:9]
	v_mul_f64 v[44:45], v[6:7], v[40:41]
	v_fmac_f64_e32 v[42:43], v[6:7], v[38:39]
	v_fmac_f64_e32 v[44:45], v[8:9], v[38:39]
	ds_write_b128 v26, v[42:45]
	s_cbranch_execnz .LBB31_21
.LBB31_20:                              ;   in Loop: Header=BB31_12 Depth=2
	v_add_u32_e32 v12, s23, v22
	v_lshl_add_u64 v[38:39], v[12:13], 4, s[20:21]
	global_load_dwordx4 v[38:41], v[38:39], off
	s_waitcnt vmcnt(0)
	v_mul_f64 v[42:43], v[40:41], -v[8:9]
	v_mul_f64 v[44:45], v[6:7], v[40:41]
	v_fmac_f64_e32 v[42:43], v[6:7], v[38:39]
	v_fmac_f64_e32 v[44:45], v[8:9], v[38:39]
	ds_write_b128 v1, v[42:45]
.LBB31_21:                              ;   in Loop: Header=BB31_12 Depth=2
	s_or_b64 exec, exec, s[42:43]
	s_and_saveexec_b64 s[42:43], s[30:31]
	s_cbranch_execz .LBB31_25
; %bb.22:                               ;   in Loop: Header=BB31_12 Depth=2
	s_and_b64 vcc, exec, s[0:1]
	s_cbranch_vccnz .LBB31_37
; %bb.23:                               ;   in Loop: Header=BB31_12 Depth=2
	v_add_u32_e32 v12, s23, v16
	v_lshl_add_u64 v[38:39], v[12:13], 4, s[20:21]
	global_load_dwordx4 v[38:41], v[38:39], off
	s_waitcnt vmcnt(0)
	v_mul_f64 v[42:43], v[40:41], -v[8:9]
	v_mul_f64 v[44:45], v[6:7], v[40:41]
	v_fmac_f64_e32 v[42:43], v[6:7], v[38:39]
	v_fmac_f64_e32 v[44:45], v[8:9], v[38:39]
	ds_write_b128 v28, v[42:45]
	s_cbranch_execnz .LBB31_25
.LBB31_24:                              ;   in Loop: Header=BB31_12 Depth=2
	v_add3_u32 v12, v22, s23, 8
	v_lshl_add_u64 v[38:39], v[12:13], 4, s[20:21]
	global_load_dwordx4 v[38:41], v[38:39], off
	s_waitcnt vmcnt(0)
	v_mul_f64 v[42:43], v[40:41], -v[8:9]
	v_mul_f64 v[44:45], v[6:7], v[40:41]
	v_fmac_f64_e32 v[42:43], v[6:7], v[38:39]
	v_fmac_f64_e32 v[44:45], v[8:9], v[38:39]
	ds_write_b128 v1, v[42:45] offset:128
.LBB31_25:                              ;   in Loop: Header=BB31_12 Depth=2
	s_or_b64 exec, exec, s[42:43]
	s_and_saveexec_b64 s[42:43], s[34:35]
	s_cbranch_execz .LBB31_29
; %bb.26:                               ;   in Loop: Header=BB31_12 Depth=2
	s_and_b64 vcc, exec, s[0:1]
	s_cbranch_vccnz .LBB31_38
; %bb.27:                               ;   in Loop: Header=BB31_12 Depth=2
	v_add_u32_e32 v12, s23, v18
	v_lshl_add_u64 v[38:39], v[12:13], 4, s[20:21]
	global_load_dwordx4 v[38:41], v[38:39], off
	s_waitcnt vmcnt(0)
	v_mul_f64 v[42:43], v[40:41], -v[8:9]
	v_mul_f64 v[44:45], v[6:7], v[40:41]
	v_fmac_f64_e32 v[42:43], v[6:7], v[38:39]
	v_fmac_f64_e32 v[44:45], v[8:9], v[38:39]
	ds_write_b128 v30, v[42:45]
	s_cbranch_execnz .LBB31_29
.LBB31_28:                              ;   in Loop: Header=BB31_12 Depth=2
	v_add3_u32 v12, v22, s23, 16
	v_lshl_add_u64 v[38:39], v[12:13], 4, s[20:21]
	global_load_dwordx4 v[38:41], v[38:39], off
	s_waitcnt vmcnt(0)
	v_mul_f64 v[42:43], v[40:41], -v[8:9]
	v_mul_f64 v[44:45], v[6:7], v[40:41]
	v_fmac_f64_e32 v[42:43], v[6:7], v[38:39]
	v_fmac_f64_e32 v[44:45], v[8:9], v[38:39]
	ds_write_b128 v1, v[42:45] offset:256
.LBB31_29:                              ;   in Loop: Header=BB31_12 Depth=2
	s_or_b64 exec, exec, s[42:43]
	s_and_saveexec_b64 s[42:43], s[36:37]
	s_cbranch_execz .LBB31_33
; %bb.30:                               ;   in Loop: Header=BB31_12 Depth=2
	s_and_b64 vcc, exec, s[0:1]
	s_cbranch_vccnz .LBB31_39
; %bb.31:                               ;   in Loop: Header=BB31_12 Depth=2
	v_add_u32_e32 v12, s23, v20
	v_lshl_add_u64 v[38:39], v[12:13], 4, s[20:21]
	global_load_dwordx4 v[38:41], v[38:39], off
	s_waitcnt vmcnt(0)
	v_mul_f64 v[42:43], v[40:41], -v[8:9]
	v_mul_f64 v[44:45], v[6:7], v[40:41]
	v_fmac_f64_e32 v[42:43], v[6:7], v[38:39]
	v_fmac_f64_e32 v[44:45], v[8:9], v[38:39]
	ds_write_b128 v32, v[42:45]
	s_cbranch_execnz .LBB31_33
.LBB31_32:                              ;   in Loop: Header=BB31_12 Depth=2
	v_add3_u32 v12, v22, s23, 24
	v_lshl_add_u64 v[38:39], v[12:13], 4, s[20:21]
	global_load_dwordx4 v[38:41], v[38:39], off
	s_waitcnt vmcnt(0)
	v_mul_f64 v[42:43], v[40:41], -v[8:9]
	v_mul_f64 v[44:45], v[6:7], v[40:41]
	v_fmac_f64_e32 v[42:43], v[6:7], v[38:39]
	v_fmac_f64_e32 v[44:45], v[8:9], v[38:39]
	ds_write_b128 v1, v[42:45] offset:384
.LBB31_33:                              ;   in Loop: Header=BB31_12 Depth=2
	s_or_b64 exec, exec, s[42:43]
	s_mov_b32 s17, s47
	s_andn2_b64 vcc, exec, s[40:41]
	s_mov_b64 s[40:41], -1
	s_cbranch_vccz .LBB31_15
.LBB31_34:                              ;   in Loop: Header=BB31_12 Depth=2
                                        ; implicit-def: $sgpr23
                                        ; implicit-def: $sgpr38_sgpr39
	s_andn2_b64 vcc, exec, s[40:41]
	s_cbranch_vccz .LBB31_41
.LBB31_35:                              ;   in Loop: Header=BB31_12 Depth=2
	s_mov_b32 s47, s17
	s_branch .LBB31_12
.LBB31_36:                              ;   in Loop: Header=BB31_12 Depth=2
	s_branch .LBB31_20
.LBB31_37:                              ;   in Loop: Header=BB31_12 Depth=2
	s_branch .LBB31_24
.LBB31_38:                              ;   in Loop: Header=BB31_12 Depth=2
	s_branch .LBB31_28
.LBB31_39:                              ;   in Loop: Header=BB31_12 Depth=2
	s_branch .LBB31_32
.LBB31_40:                              ;   in Loop: Header=BB31_10 Depth=1
	s_mov_b32 s17, s8
.LBB31_41:                              ;   in Loop: Header=BB31_10 Depth=1
	s_cmp_ge_i32 s22, s33
	s_waitcnt lgkmcnt(0)
	s_barrier
	s_cbranch_scc1 .LBB31_71
; %bb.42:                               ;   in Loop: Header=BB31_10 Depth=1
	s_mul_i32 s23, s9, s22
	v_add_u32_e32 v12, s23, v10
	v_mad_u64_u32 v[14:15], s[38:39], s9, v12, v[0:1]
	v_add_u32_e32 v12, s23, v27
	v_mad_u64_u32 v[16:17], s[38:39], s9, v12, v[0:1]
	;; [unrolled: 2-line block ×5, first 2 shown]
	s_ashr_i32 s23, s22, 31
	s_lshl_b64 s[38:39], s[22:23], 2
	s_add_u32 s38, s2, s38
	s_addc_u32 s39, s3, s39
	s_mov_b32 s23, 0
.LBB31_43:                              ;   Parent Loop BB31_10 Depth=1
                                        ; =>  This Inner Loop Header: Depth=2
	global_load_dword v12, v13, s[38:39]
	s_mov_b64 s[42:43], -1
                                        ; implicit-def: $sgpr44
	s_waitcnt vmcnt(0)
	v_readfirstlane_b32 s40, v12
	s_sub_i32 s45, s40, s13
	s_cmp_eq_u32 s45, s25
	s_cselect_b64 s[40:41], -1, 0
	s_cmp_lg_u32 s45, s25
	s_cbranch_scc1 .LBB31_47
; %bb.44:                               ;   in Loop: Header=BB31_43 Depth=2
	s_andn2_b64 vcc, exec, s[42:43]
	s_cbranch_vccz .LBB31_48
.LBB31_45:                              ;   in Loop: Header=BB31_43 Depth=2
	s_andn2_b64 vcc, exec, s[40:41]
	s_mov_b64 s[40:41], -1
	s_cbranch_vccnz .LBB31_65
.LBB31_46:                              ;   in Loop: Header=BB31_43 Depth=2
	s_add_i32 s22, s22, 1
	s_add_i32 s23, s23, s46
	s_add_u32 s38, s38, 4
	s_addc_u32 s39, s39, 0
	s_cmp_ge_i32 s22, s33
	s_cselect_b64 s[40:41], -1, 0
	s_andn2_b64 vcc, exec, s[40:41]
	s_cbranch_vccnz .LBB31_66
	s_branch .LBB31_72
.LBB31_47:                              ;   in Loop: Header=BB31_43 Depth=2
	s_min_i32 s44, s45, s17
	s_cbranch_execnz .LBB31_45
.LBB31_48:                              ;   in Loop: Header=BB31_43 Depth=2
	ds_write_b32 v13, v33 offset:16384
	s_and_saveexec_b64 s[42:43], s[28:29]
	s_cbranch_execz .LBB31_52
; %bb.49:                               ;   in Loop: Header=BB31_43 Depth=2
	s_and_b64 vcc, exec, s[26:27]
	s_cbranch_vccz .LBB31_67
; %bb.50:                               ;   in Loop: Header=BB31_43 Depth=2
	v_add_u32_e32 v12, s23, v14
	v_lshl_add_u64 v[38:39], v[12:13], 4, s[18:19]
	global_load_dwordx4 v[38:41], v[38:39], off
	ds_read_b128 v[42:45], v26
	s_waitcnt vmcnt(0) lgkmcnt(0)
	v_fmac_f64_e32 v[42:43], v[2:3], v[38:39]
	v_fmac_f64_e32 v[44:45], v[4:5], v[38:39]
	v_fma_f64 v[42:43], -v[4:5], v[40:41], v[42:43]
	v_fmac_f64_e32 v[44:45], v[2:3], v[40:41]
	ds_write_b128 v26, v[42:45]
	s_cbranch_execnz .LBB31_52
.LBB31_51:                              ;   in Loop: Header=BB31_43 Depth=2
	v_add_u32_e32 v12, s23, v22
	v_lshl_add_u64 v[38:39], v[12:13], 4, s[18:19]
	global_load_dwordx4 v[38:41], v[38:39], off
	ds_read_b128 v[42:45], v1
	s_waitcnt vmcnt(0) lgkmcnt(0)
	v_fmac_f64_e32 v[42:43], v[2:3], v[38:39]
	v_fmac_f64_e32 v[44:45], v[4:5], v[38:39]
	v_fma_f64 v[42:43], -v[4:5], v[40:41], v[42:43]
	v_fmac_f64_e32 v[44:45], v[2:3], v[40:41]
	ds_write_b128 v1, v[42:45]
.LBB31_52:                              ;   in Loop: Header=BB31_43 Depth=2
	s_or_b64 exec, exec, s[42:43]
	s_and_saveexec_b64 s[42:43], s[30:31]
	s_cbranch_execz .LBB31_56
; %bb.53:                               ;   in Loop: Header=BB31_43 Depth=2
	s_and_b64 vcc, exec, s[0:1]
	s_cbranch_vccnz .LBB31_68
; %bb.54:                               ;   in Loop: Header=BB31_43 Depth=2
	v_add_u32_e32 v12, s23, v16
	v_lshl_add_u64 v[38:39], v[12:13], 4, s[18:19]
	global_load_dwordx4 v[38:41], v[38:39], off
	ds_read_b128 v[42:45], v28
	s_waitcnt vmcnt(0) lgkmcnt(0)
	v_fmac_f64_e32 v[42:43], v[2:3], v[38:39]
	v_fmac_f64_e32 v[44:45], v[4:5], v[38:39]
	v_fma_f64 v[42:43], -v[4:5], v[40:41], v[42:43]
	v_fmac_f64_e32 v[44:45], v[2:3], v[40:41]
	ds_write_b128 v28, v[42:45]
	s_cbranch_execnz .LBB31_56
.LBB31_55:                              ;   in Loop: Header=BB31_43 Depth=2
	v_add3_u32 v12, v22, s23, 8
	v_lshl_add_u64 v[38:39], v[12:13], 4, s[18:19]
	global_load_dwordx4 v[38:41], v[38:39], off
	ds_read_b128 v[42:45], v1 offset:128
	s_waitcnt vmcnt(0) lgkmcnt(0)
	v_fmac_f64_e32 v[42:43], v[2:3], v[38:39]
	v_fmac_f64_e32 v[44:45], v[4:5], v[38:39]
	v_fma_f64 v[42:43], -v[4:5], v[40:41], v[42:43]
	v_fmac_f64_e32 v[44:45], v[2:3], v[40:41]
	ds_write_b128 v1, v[42:45] offset:128
.LBB31_56:                              ;   in Loop: Header=BB31_43 Depth=2
	s_or_b64 exec, exec, s[42:43]
	s_and_saveexec_b64 s[42:43], s[34:35]
	s_cbranch_execz .LBB31_60
; %bb.57:                               ;   in Loop: Header=BB31_43 Depth=2
	s_and_b64 vcc, exec, s[0:1]
	s_cbranch_vccnz .LBB31_69
; %bb.58:                               ;   in Loop: Header=BB31_43 Depth=2
	v_add_u32_e32 v12, s23, v18
	v_lshl_add_u64 v[38:39], v[12:13], 4, s[18:19]
	global_load_dwordx4 v[38:41], v[38:39], off
	ds_read_b128 v[42:45], v30
	s_waitcnt vmcnt(0) lgkmcnt(0)
	v_fmac_f64_e32 v[42:43], v[2:3], v[38:39]
	v_fmac_f64_e32 v[44:45], v[4:5], v[38:39]
	v_fma_f64 v[42:43], -v[4:5], v[40:41], v[42:43]
	v_fmac_f64_e32 v[44:45], v[2:3], v[40:41]
	ds_write_b128 v30, v[42:45]
	s_cbranch_execnz .LBB31_60
.LBB31_59:                              ;   in Loop: Header=BB31_43 Depth=2
	v_add3_u32 v12, v22, s23, 16
	v_lshl_add_u64 v[38:39], v[12:13], 4, s[18:19]
	global_load_dwordx4 v[38:41], v[38:39], off
	ds_read_b128 v[42:45], v1 offset:256
	s_waitcnt vmcnt(0) lgkmcnt(0)
	v_fmac_f64_e32 v[42:43], v[2:3], v[38:39]
	v_fmac_f64_e32 v[44:45], v[4:5], v[38:39]
	v_fma_f64 v[42:43], -v[4:5], v[40:41], v[42:43]
	v_fmac_f64_e32 v[44:45], v[2:3], v[40:41]
	ds_write_b128 v1, v[42:45] offset:256
.LBB31_60:                              ;   in Loop: Header=BB31_43 Depth=2
	s_or_b64 exec, exec, s[42:43]
	s_and_saveexec_b64 s[42:43], s[36:37]
	s_cbranch_execz .LBB31_64
; %bb.61:                               ;   in Loop: Header=BB31_43 Depth=2
	s_and_b64 vcc, exec, s[0:1]
	s_cbranch_vccnz .LBB31_70
; %bb.62:                               ;   in Loop: Header=BB31_43 Depth=2
	v_add_u32_e32 v12, s23, v20
	v_lshl_add_u64 v[38:39], v[12:13], 4, s[18:19]
	global_load_dwordx4 v[38:41], v[38:39], off
	ds_read_b128 v[42:45], v32
	s_waitcnt vmcnt(0) lgkmcnt(0)
	v_fmac_f64_e32 v[42:43], v[2:3], v[38:39]
	v_fmac_f64_e32 v[44:45], v[4:5], v[38:39]
	v_fma_f64 v[42:43], -v[4:5], v[40:41], v[42:43]
	v_fmac_f64_e32 v[44:45], v[2:3], v[40:41]
	ds_write_b128 v32, v[42:45]
	s_cbranch_execnz .LBB31_64
.LBB31_63:                              ;   in Loop: Header=BB31_43 Depth=2
	v_add3_u32 v12, v22, s23, 24
	v_lshl_add_u64 v[38:39], v[12:13], 4, s[18:19]
	global_load_dwordx4 v[38:41], v[38:39], off
	ds_read_b128 v[42:45], v1 offset:384
	s_waitcnt vmcnt(0) lgkmcnt(0)
	v_fmac_f64_e32 v[42:43], v[2:3], v[38:39]
	v_fmac_f64_e32 v[44:45], v[4:5], v[38:39]
	v_fma_f64 v[42:43], -v[4:5], v[40:41], v[42:43]
	v_fmac_f64_e32 v[44:45], v[2:3], v[40:41]
	ds_write_b128 v1, v[42:45] offset:384
.LBB31_64:                              ;   in Loop: Header=BB31_43 Depth=2
	s_or_b64 exec, exec, s[42:43]
	s_mov_b32 s44, s17
	s_andn2_b64 vcc, exec, s[40:41]
	s_mov_b64 s[40:41], -1
	s_cbranch_vccz .LBB31_46
.LBB31_65:                              ;   in Loop: Header=BB31_43 Depth=2
                                        ; implicit-def: $sgpr23
                                        ; implicit-def: $sgpr38_sgpr39
	s_andn2_b64 vcc, exec, s[40:41]
	s_cbranch_vccz .LBB31_72
.LBB31_66:                              ;   in Loop: Header=BB31_43 Depth=2
	s_mov_b32 s17, s44
	s_branch .LBB31_43
.LBB31_67:                              ;   in Loop: Header=BB31_43 Depth=2
	s_branch .LBB31_51
.LBB31_68:                              ;   in Loop: Header=BB31_43 Depth=2
	s_branch .LBB31_55
.LBB31_69:                              ;   in Loop: Header=BB31_43 Depth=2
	s_branch .LBB31_59
.LBB31_70:                              ;   in Loop: Header=BB31_43 Depth=2
	s_branch .LBB31_63
.LBB31_71:                              ;   in Loop: Header=BB31_10 Depth=1
	s_mov_b32 s44, s17
.LBB31_72:                              ;   in Loop: Header=BB31_10 Depth=1
	s_waitcnt lgkmcnt(0)
	s_barrier
	ds_read_b32 v12, v13 offset:16384
	s_waitcnt lgkmcnt(0)
	v_cmp_eq_u32_e32 vcc, 0, v12
	s_cbranch_vccnz .LBB31_9
; %bb.73:                               ;   in Loop: Header=BB31_10 Depth=1
	s_add_i32 s17, s25, s14
	s_ashr_i32 s25, s24, 31
	s_lshl_b64 s[38:39], s[24:25], 2
	s_add_u32 s38, s4, s38
	s_addc_u32 s39, s5, s39
	v_mov_b32_e32 v12, s17
	s_mul_i32 s17, s24, s9
	global_store_dword v13, v12, s[38:39]
	v_add_u32_e32 v12, s17, v0
	v_mul_lo_u32 v14, v12, s9
	s_and_saveexec_b64 s[38:39], s[28:29]
	s_cbranch_execnz .LBB31_77
; %bb.74:                               ;   in Loop: Header=BB31_10 Depth=1
	s_or_b64 exec, exec, s[38:39]
	s_and_saveexec_b64 s[38:39], s[30:31]
	s_cbranch_execnz .LBB31_81
.LBB31_75:                              ;   in Loop: Header=BB31_10 Depth=1
	s_or_b64 exec, exec, s[38:39]
	s_and_saveexec_b64 s[38:39], s[34:35]
	s_cbranch_execnz .LBB31_85
.LBB31_76:                              ;   in Loop: Header=BB31_10 Depth=1
	s_or_b64 exec, exec, s[38:39]
	s_and_saveexec_b64 s[38:39], s[36:37]
	s_cbranch_execz .LBB31_8
	s_branch .LBB31_89
.LBB31_77:                              ;   in Loop: Header=BB31_10 Depth=1
	s_and_b64 vcc, exec, s[26:27]
	s_cbranch_vccz .LBB31_91
; %bb.78:                               ;   in Loop: Header=BB31_10 Depth=1
	v_add_u32_e32 v12, s17, v10
	v_mad_u64_u32 v[16:17], s[40:41], v12, s9, v[0:1]
	v_mov_b32_e32 v12, v16
	v_mov_b32_e32 v15, v26
	s_cbranch_execnz .LBB31_80
.LBB31_79:                              ;   in Loop: Header=BB31_10 Depth=1
	v_add_u32_e32 v12, v14, v10
	v_mov_b32_e32 v15, v1
.LBB31_80:                              ;   in Loop: Header=BB31_10 Depth=1
	ds_read2_b64 v[16:19], v15 offset1:1
	v_lshl_add_u64 v[20:21], v[12:13], 4, s[6:7]
	s_waitcnt lgkmcnt(0)
	global_store_dwordx4 v[20:21], v[16:19], off
	s_or_b64 exec, exec, s[38:39]
	s_and_saveexec_b64 s[38:39], s[30:31]
	s_cbranch_execz .LBB31_75
.LBB31_81:                              ;   in Loop: Header=BB31_10 Depth=1
	s_and_b64 vcc, exec, s[0:1]
	s_cbranch_vccnz .LBB31_92
; %bb.82:                               ;   in Loop: Header=BB31_10 Depth=1
	v_add_u32_e32 v12, s17, v27
	v_mad_u64_u32 v[16:17], s[40:41], v12, s9, v[0:1]
	v_mov_b32_e32 v12, v16
	v_mov_b32_e32 v15, v28
	s_cbranch_execnz .LBB31_84
.LBB31_83:                              ;   in Loop: Header=BB31_10 Depth=1
	v_add_u32_e32 v12, v14, v27
	v_mov_b32_e32 v15, v11
.LBB31_84:                              ;   in Loop: Header=BB31_10 Depth=1
	ds_read2_b64 v[16:19], v15 offset1:1
	v_lshl_add_u64 v[20:21], v[12:13], 4, s[6:7]
	s_waitcnt lgkmcnt(0)
	global_store_dwordx4 v[20:21], v[16:19], off
	s_or_b64 exec, exec, s[38:39]
	s_and_saveexec_b64 s[38:39], s[34:35]
	s_cbranch_execz .LBB31_76
.LBB31_85:                              ;   in Loop: Header=BB31_10 Depth=1
	s_and_b64 vcc, exec, s[0:1]
	s_cbranch_vccnz .LBB31_93
; %bb.86:                               ;   in Loop: Header=BB31_10 Depth=1
	v_add_u32_e32 v12, s17, v29
	v_mad_u64_u32 v[16:17], s[40:41], v12, s9, v[0:1]
	v_mov_b32_e32 v12, v16
	v_mov_b32_e32 v15, v30
	s_cbranch_execnz .LBB31_88
.LBB31_87:                              ;   in Loop: Header=BB31_10 Depth=1
	v_add_u32_e32 v12, v14, v29
	v_mov_b32_e32 v15, v24
.LBB31_88:                              ;   in Loop: Header=BB31_10 Depth=1
	ds_read2_b64 v[16:19], v15 offset1:1
	v_lshl_add_u64 v[20:21], v[12:13], 4, s[6:7]
	s_waitcnt lgkmcnt(0)
	global_store_dwordx4 v[20:21], v[16:19], off
	s_or_b64 exec, exec, s[38:39]
	s_and_saveexec_b64 s[38:39], s[36:37]
	s_cbranch_execz .LBB31_8
.LBB31_89:                              ;   in Loop: Header=BB31_10 Depth=1
	s_and_b64 vcc, exec, s[0:1]
	s_cbranch_vccnz .LBB31_94
; %bb.90:                               ;   in Loop: Header=BB31_10 Depth=1
	v_add_u32_e32 v12, s17, v31
	v_mad_u64_u32 v[16:17], s[40:41], v12, s9, v[0:1]
	v_mov_b32_e32 v12, v16
	v_mov_b32_e32 v15, v32
	s_cbranch_execnz .LBB31_7
	s_branch .LBB31_95
.LBB31_91:                              ;   in Loop: Header=BB31_10 Depth=1
	v_mov_b32_e32 v15, v26
	s_branch .LBB31_79
.LBB31_92:                              ;   in Loop: Header=BB31_10 Depth=1
	v_mov_b32_e32 v15, v28
	s_branch .LBB31_83
.LBB31_93:                              ;   in Loop: Header=BB31_10 Depth=1
	v_mov_b32_e32 v15, v30
	s_branch .LBB31_87
.LBB31_94:                              ;   in Loop: Header=BB31_10 Depth=1
	v_mov_b32_e32 v15, v32
.LBB31_95:                              ;   in Loop: Header=BB31_10 Depth=1
	v_add_u32_e32 v12, v14, v31
	v_mov_b32_e32 v15, v25
	s_branch .LBB31_7
.LBB31_96:
	s_endpgm
	.section	.rodata,"a",@progbits
	.p2align	6, 0x0
	.amdhsa_kernel _ZN9rocsparseL39bsrgeam_block_per_row_multipass_kernel2ILj256ELj32E21rocsparse_complex_numIdEEEv20rocsparse_direction_iiiNS_24const_host_device_scalarIT1_EEPKiS8_PKS5_S6_S8_S8_SA_S8_PiPS5_21rocsparse_index_base_SD_SD_b
		.amdhsa_group_segment_fixed_size 16392
		.amdhsa_private_segment_fixed_size 16
		.amdhsa_kernarg_size 136
		.amdhsa_user_sgpr_count 2
		.amdhsa_user_sgpr_dispatch_ptr 0
		.amdhsa_user_sgpr_queue_ptr 0
		.amdhsa_user_sgpr_kernarg_segment_ptr 1
		.amdhsa_user_sgpr_dispatch_id 0
		.amdhsa_user_sgpr_kernarg_preload_length 0
		.amdhsa_user_sgpr_kernarg_preload_offset 0
		.amdhsa_user_sgpr_private_segment_size 0
		.amdhsa_uses_dynamic_stack 0
		.amdhsa_enable_private_segment 1
		.amdhsa_system_sgpr_workgroup_id_x 1
		.amdhsa_system_sgpr_workgroup_id_y 0
		.amdhsa_system_sgpr_workgroup_id_z 0
		.amdhsa_system_sgpr_workgroup_info 0
		.amdhsa_system_vgpr_workitem_id 0
		.amdhsa_next_free_vgpr 46
		.amdhsa_next_free_sgpr 48
		.amdhsa_accum_offset 48
		.amdhsa_reserve_vcc 1
		.amdhsa_float_round_mode_32 0
		.amdhsa_float_round_mode_16_64 0
		.amdhsa_float_denorm_mode_32 3
		.amdhsa_float_denorm_mode_16_64 3
		.amdhsa_dx10_clamp 1
		.amdhsa_ieee_mode 1
		.amdhsa_fp16_overflow 0
		.amdhsa_tg_split 0
		.amdhsa_exception_fp_ieee_invalid_op 0
		.amdhsa_exception_fp_denorm_src 0
		.amdhsa_exception_fp_ieee_div_zero 0
		.amdhsa_exception_fp_ieee_overflow 0
		.amdhsa_exception_fp_ieee_underflow 0
		.amdhsa_exception_fp_ieee_inexact 0
		.amdhsa_exception_int_div_zero 0
	.end_amdhsa_kernel
	.section	.text._ZN9rocsparseL39bsrgeam_block_per_row_multipass_kernel2ILj256ELj32E21rocsparse_complex_numIdEEEv20rocsparse_direction_iiiNS_24const_host_device_scalarIT1_EEPKiS8_PKS5_S6_S8_S8_SA_S8_PiPS5_21rocsparse_index_base_SD_SD_b,"axG",@progbits,_ZN9rocsparseL39bsrgeam_block_per_row_multipass_kernel2ILj256ELj32E21rocsparse_complex_numIdEEEv20rocsparse_direction_iiiNS_24const_host_device_scalarIT1_EEPKiS8_PKS5_S6_S8_S8_SA_S8_PiPS5_21rocsparse_index_base_SD_SD_b,comdat
.Lfunc_end31:
	.size	_ZN9rocsparseL39bsrgeam_block_per_row_multipass_kernel2ILj256ELj32E21rocsparse_complex_numIdEEEv20rocsparse_direction_iiiNS_24const_host_device_scalarIT1_EEPKiS8_PKS5_S6_S8_S8_SA_S8_PiPS5_21rocsparse_index_base_SD_SD_b, .Lfunc_end31-_ZN9rocsparseL39bsrgeam_block_per_row_multipass_kernel2ILj256ELj32E21rocsparse_complex_numIdEEEv20rocsparse_direction_iiiNS_24const_host_device_scalarIT1_EEPKiS8_PKS5_S6_S8_S8_SA_S8_PiPS5_21rocsparse_index_base_SD_SD_b
                                        ; -- End function
	.set _ZN9rocsparseL39bsrgeam_block_per_row_multipass_kernel2ILj256ELj32E21rocsparse_complex_numIdEEEv20rocsparse_direction_iiiNS_24const_host_device_scalarIT1_EEPKiS8_PKS5_S6_S8_S8_SA_S8_PiPS5_21rocsparse_index_base_SD_SD_b.num_vgpr, 46
	.set _ZN9rocsparseL39bsrgeam_block_per_row_multipass_kernel2ILj256ELj32E21rocsparse_complex_numIdEEEv20rocsparse_direction_iiiNS_24const_host_device_scalarIT1_EEPKiS8_PKS5_S6_S8_S8_SA_S8_PiPS5_21rocsparse_index_base_SD_SD_b.num_agpr, 0
	.set _ZN9rocsparseL39bsrgeam_block_per_row_multipass_kernel2ILj256ELj32E21rocsparse_complex_numIdEEEv20rocsparse_direction_iiiNS_24const_host_device_scalarIT1_EEPKiS8_PKS5_S6_S8_S8_SA_S8_PiPS5_21rocsparse_index_base_SD_SD_b.numbered_sgpr, 48
	.set _ZN9rocsparseL39bsrgeam_block_per_row_multipass_kernel2ILj256ELj32E21rocsparse_complex_numIdEEEv20rocsparse_direction_iiiNS_24const_host_device_scalarIT1_EEPKiS8_PKS5_S6_S8_S8_SA_S8_PiPS5_21rocsparse_index_base_SD_SD_b.num_named_barrier, 0
	.set _ZN9rocsparseL39bsrgeam_block_per_row_multipass_kernel2ILj256ELj32E21rocsparse_complex_numIdEEEv20rocsparse_direction_iiiNS_24const_host_device_scalarIT1_EEPKiS8_PKS5_S6_S8_S8_SA_S8_PiPS5_21rocsparse_index_base_SD_SD_b.private_seg_size, 16
	.set _ZN9rocsparseL39bsrgeam_block_per_row_multipass_kernel2ILj256ELj32E21rocsparse_complex_numIdEEEv20rocsparse_direction_iiiNS_24const_host_device_scalarIT1_EEPKiS8_PKS5_S6_S8_S8_SA_S8_PiPS5_21rocsparse_index_base_SD_SD_b.uses_vcc, 1
	.set _ZN9rocsparseL39bsrgeam_block_per_row_multipass_kernel2ILj256ELj32E21rocsparse_complex_numIdEEEv20rocsparse_direction_iiiNS_24const_host_device_scalarIT1_EEPKiS8_PKS5_S6_S8_S8_SA_S8_PiPS5_21rocsparse_index_base_SD_SD_b.uses_flat_scratch, 0
	.set _ZN9rocsparseL39bsrgeam_block_per_row_multipass_kernel2ILj256ELj32E21rocsparse_complex_numIdEEEv20rocsparse_direction_iiiNS_24const_host_device_scalarIT1_EEPKiS8_PKS5_S6_S8_S8_SA_S8_PiPS5_21rocsparse_index_base_SD_SD_b.has_dyn_sized_stack, 0
	.set _ZN9rocsparseL39bsrgeam_block_per_row_multipass_kernel2ILj256ELj32E21rocsparse_complex_numIdEEEv20rocsparse_direction_iiiNS_24const_host_device_scalarIT1_EEPKiS8_PKS5_S6_S8_S8_SA_S8_PiPS5_21rocsparse_index_base_SD_SD_b.has_recursion, 0
	.set _ZN9rocsparseL39bsrgeam_block_per_row_multipass_kernel2ILj256ELj32E21rocsparse_complex_numIdEEEv20rocsparse_direction_iiiNS_24const_host_device_scalarIT1_EEPKiS8_PKS5_S6_S8_S8_SA_S8_PiPS5_21rocsparse_index_base_SD_SD_b.has_indirect_call, 0
	.section	.AMDGPU.csdata,"",@progbits
; Kernel info:
; codeLenInByte = 2832
; TotalNumSgprs: 54
; NumVgprs: 46
; NumAgprs: 0
; TotalNumVgprs: 46
; ScratchSize: 16
; MemoryBound: 0
; FloatMode: 240
; IeeeMode: 1
; LDSByteSize: 16392 bytes/workgroup (compile time only)
; SGPRBlocks: 6
; VGPRBlocks: 5
; NumSGPRsForWavesPerEU: 54
; NumVGPRsForWavesPerEU: 46
; AccumOffset: 48
; Occupancy: 8
; WaveLimiterHint : 1
; COMPUTE_PGM_RSRC2:SCRATCH_EN: 1
; COMPUTE_PGM_RSRC2:USER_SGPR: 2
; COMPUTE_PGM_RSRC2:TRAP_HANDLER: 0
; COMPUTE_PGM_RSRC2:TGID_X_EN: 1
; COMPUTE_PGM_RSRC2:TGID_Y_EN: 0
; COMPUTE_PGM_RSRC2:TGID_Z_EN: 0
; COMPUTE_PGM_RSRC2:TIDIG_COMP_CNT: 0
; COMPUTE_PGM_RSRC3_GFX90A:ACCUM_OFFSET: 11
; COMPUTE_PGM_RSRC3_GFX90A:TG_SPLIT: 0
	.section	.AMDGPU.gpr_maximums,"",@progbits
	.set amdgpu.max_num_vgpr, 0
	.set amdgpu.max_num_agpr, 0
	.set amdgpu.max_num_sgpr, 0
	.section	.AMDGPU.csdata,"",@progbits
	.type	__hip_cuid_be83c61ecc34df44,@object ; @__hip_cuid_be83c61ecc34df44
	.section	.bss,"aw",@nobits
	.globl	__hip_cuid_be83c61ecc34df44
__hip_cuid_be83c61ecc34df44:
	.byte	0                               ; 0x0
	.size	__hip_cuid_be83c61ecc34df44, 1

	.ident	"AMD clang version 22.0.0git (https://github.com/RadeonOpenCompute/llvm-project roc-7.2.4 26084 f58b06dce1f9c15707c5f808fd002e18c2accf7e)"
	.section	".note.GNU-stack","",@progbits
	.addrsig
	.addrsig_sym __hip_cuid_be83c61ecc34df44
	.amdgpu_metadata
---
amdhsa.kernels:
  - .agpr_count:     0
    .args:
      - .offset:         0
        .size:           4
        .value_kind:     by_value
      - .offset:         4
        .size:           4
        .value_kind:     by_value
      - .offset:         8
        .size:           4
        .value_kind:     by_value
      - .offset:         12
        .size:           4
        .value_kind:     by_value
      - .offset:         16
        .size:           8
        .value_kind:     by_value
      - .actual_access:  read_only
        .address_space:  global
        .offset:         24
        .size:           8
        .value_kind:     global_buffer
      - .actual_access:  read_only
        .address_space:  global
        .offset:         32
        .size:           8
        .value_kind:     global_buffer
      - .actual_access:  read_only
        .address_space:  global
        .offset:         40
        .size:           8
        .value_kind:     global_buffer
      - .offset:         48
        .size:           8
        .value_kind:     by_value
      - .actual_access:  read_only
        .address_space:  global
        .offset:         56
        .size:           8
        .value_kind:     global_buffer
      - .actual_access:  read_only
        .address_space:  global
        .offset:         64
        .size:           8
        .value_kind:     global_buffer
      - .actual_access:  read_only
        .address_space:  global
        .offset:         72
        .size:           8
        .value_kind:     global_buffer
      - .actual_access:  read_only
        .address_space:  global
        .offset:         80
        .size:           8
        .value_kind:     global_buffer
      - .actual_access:  write_only
        .address_space:  global
        .offset:         88
        .size:           8
        .value_kind:     global_buffer
      - .actual_access:  write_only
        .address_space:  global
        .offset:         96
        .size:           8
        .value_kind:     global_buffer
      - .offset:         104
        .size:           4
        .value_kind:     by_value
      - .offset:         108
        .size:           4
        .value_kind:     by_value
      - .offset:         112
        .size:           4
        .value_kind:     by_value
      - .offset:         116
        .size:           1
        .value_kind:     by_value
    .group_segment_fixed_size: 4352
    .kernarg_segment_align: 8
    .kernarg_segment_size: 120
    .language:       OpenCL C
    .language_version:
      - 2
      - 0
    .max_flat_workgroup_size: 256
    .name:           _ZN9rocsparseL39bsrgeam_wf_per_row_multipass_2_3_kernelILj256ELj2ELj32EfEEv20rocsparse_direction_iiiNS_24const_host_device_scalarIT2_EEPKiS6_PKS3_S4_S6_S6_S8_S6_PiPS3_21rocsparse_index_base_SB_SB_b
    .private_segment_fixed_size: 0
    .sgpr_count:     42
    .sgpr_spill_count: 0
    .symbol:         _ZN9rocsparseL39bsrgeam_wf_per_row_multipass_2_3_kernelILj256ELj2ELj32EfEEv20rocsparse_direction_iiiNS_24const_host_device_scalarIT2_EEPKiS6_PKS3_S4_S6_S6_S8_S6_PiPS3_21rocsparse_index_base_SB_SB_b.kd
    .uniform_work_group_size: 1
    .uses_dynamic_stack: false
    .vgpr_count:     40
    .vgpr_spill_count: 0
    .wavefront_size: 64
  - .agpr_count:     0
    .args:
      - .offset:         0
        .size:           4
        .value_kind:     by_value
      - .offset:         4
        .size:           4
        .value_kind:     by_value
      - .offset:         8
        .size:           4
        .value_kind:     by_value
      - .offset:         12
        .size:           4
        .value_kind:     by_value
      - .offset:         16
        .size:           8
        .value_kind:     by_value
      - .actual_access:  read_only
        .address_space:  global
        .offset:         24
        .size:           8
        .value_kind:     global_buffer
      - .actual_access:  read_only
        .address_space:  global
        .offset:         32
        .size:           8
        .value_kind:     global_buffer
      - .actual_access:  read_only
        .address_space:  global
        .offset:         40
        .size:           8
        .value_kind:     global_buffer
      - .offset:         48
        .size:           8
        .value_kind:     by_value
      - .actual_access:  read_only
        .address_space:  global
        .offset:         56
        .size:           8
        .value_kind:     global_buffer
      - .actual_access:  read_only
        .address_space:  global
        .offset:         64
        .size:           8
        .value_kind:     global_buffer
      - .actual_access:  read_only
        .address_space:  global
        .offset:         72
        .size:           8
        .value_kind:     global_buffer
      - .actual_access:  read_only
        .address_space:  global
        .offset:         80
        .size:           8
        .value_kind:     global_buffer
      - .actual_access:  write_only
        .address_space:  global
        .offset:         88
        .size:           8
        .value_kind:     global_buffer
      - .actual_access:  write_only
        .address_space:  global
        .offset:         96
        .size:           8
        .value_kind:     global_buffer
      - .offset:         104
        .size:           4
        .value_kind:     by_value
      - .offset:         108
        .size:           4
        .value_kind:     by_value
      - .offset:         112
        .size:           4
        .value_kind:     by_value
      - .offset:         116
        .size:           1
        .value_kind:     by_value
    .group_segment_fixed_size: 4352
    .kernarg_segment_align: 8
    .kernarg_segment_size: 120
    .language:       OpenCL C
    .language_version:
      - 2
      - 0
    .max_flat_workgroup_size: 256
    .name:           _ZN9rocsparseL39bsrgeam_wf_per_row_multipass_2_3_kernelILj256ELj2ELj64EfEEv20rocsparse_direction_iiiNS_24const_host_device_scalarIT2_EEPKiS6_PKS3_S4_S6_S6_S8_S6_PiPS3_21rocsparse_index_base_SB_SB_b
    .private_segment_fixed_size: 0
    .sgpr_count:     42
    .sgpr_spill_count: 0
    .symbol:         _ZN9rocsparseL39bsrgeam_wf_per_row_multipass_2_3_kernelILj256ELj2ELj64EfEEv20rocsparse_direction_iiiNS_24const_host_device_scalarIT2_EEPKiS6_PKS3_S4_S6_S6_S8_S6_PiPS3_21rocsparse_index_base_SB_SB_b.kd
    .uniform_work_group_size: 1
    .uses_dynamic_stack: false
    .vgpr_count:     42
    .vgpr_spill_count: 0
    .wavefront_size: 64
  - .agpr_count:     0
    .args:
      - .offset:         0
        .size:           4
        .value_kind:     by_value
      - .offset:         4
        .size:           4
        .value_kind:     by_value
      - .offset:         8
        .size:           4
        .value_kind:     by_value
      - .offset:         12
        .size:           4
        .value_kind:     by_value
      - .offset:         16
        .size:           8
        .value_kind:     by_value
      - .actual_access:  read_only
        .address_space:  global
        .offset:         24
        .size:           8
        .value_kind:     global_buffer
      - .actual_access:  read_only
        .address_space:  global
        .offset:         32
        .size:           8
        .value_kind:     global_buffer
      - .actual_access:  read_only
        .address_space:  global
        .offset:         40
        .size:           8
        .value_kind:     global_buffer
      - .offset:         48
        .size:           8
        .value_kind:     by_value
      - .actual_access:  read_only
        .address_space:  global
        .offset:         56
        .size:           8
        .value_kind:     global_buffer
      - .actual_access:  read_only
        .address_space:  global
        .offset:         64
        .size:           8
        .value_kind:     global_buffer
      - .actual_access:  read_only
        .address_space:  global
        .offset:         72
        .size:           8
        .value_kind:     global_buffer
      - .actual_access:  read_only
        .address_space:  global
        .offset:         80
        .size:           8
        .value_kind:     global_buffer
      - .actual_access:  write_only
        .address_space:  global
        .offset:         88
        .size:           8
        .value_kind:     global_buffer
      - .actual_access:  write_only
        .address_space:  global
        .offset:         96
        .size:           8
        .value_kind:     global_buffer
      - .offset:         104
        .size:           4
        .value_kind:     by_value
      - .offset:         108
        .size:           4
        .value_kind:     by_value
      - .offset:         112
        .size:           4
        .value_kind:     by_value
      - .offset:         116
        .size:           1
        .value_kind:     by_value
    .group_segment_fixed_size: 9472
    .kernarg_segment_align: 8
    .kernarg_segment_size: 120
    .language:       OpenCL C
    .language_version:
      - 2
      - 0
    .max_flat_workgroup_size: 256
    .name:           _ZN9rocsparseL39bsrgeam_wf_per_row_multipass_2_3_kernelILj256ELj3ELj32EfEEv20rocsparse_direction_iiiNS_24const_host_device_scalarIT2_EEPKiS6_PKS3_S4_S6_S6_S8_S6_PiPS3_21rocsparse_index_base_SB_SB_b
    .private_segment_fixed_size: 0
    .sgpr_count:     46
    .sgpr_spill_count: 0
    .symbol:         _ZN9rocsparseL39bsrgeam_wf_per_row_multipass_2_3_kernelILj256ELj3ELj32EfEEv20rocsparse_direction_iiiNS_24const_host_device_scalarIT2_EEPKiS6_PKS3_S4_S6_S6_S8_S6_PiPS3_21rocsparse_index_base_SB_SB_b.kd
    .uniform_work_group_size: 1
    .uses_dynamic_stack: false
    .vgpr_count:     62
    .vgpr_spill_count: 0
    .wavefront_size: 64
  - .agpr_count:     0
    .args:
      - .offset:         0
        .size:           4
        .value_kind:     by_value
      - .offset:         4
        .size:           4
        .value_kind:     by_value
      - .offset:         8
        .size:           4
        .value_kind:     by_value
      - .offset:         12
        .size:           4
        .value_kind:     by_value
      - .offset:         16
        .size:           8
        .value_kind:     by_value
      - .actual_access:  read_only
        .address_space:  global
        .offset:         24
        .size:           8
        .value_kind:     global_buffer
      - .actual_access:  read_only
        .address_space:  global
        .offset:         32
        .size:           8
        .value_kind:     global_buffer
      - .actual_access:  read_only
        .address_space:  global
        .offset:         40
        .size:           8
        .value_kind:     global_buffer
      - .offset:         48
        .size:           8
        .value_kind:     by_value
      - .actual_access:  read_only
        .address_space:  global
        .offset:         56
        .size:           8
        .value_kind:     global_buffer
      - .actual_access:  read_only
        .address_space:  global
        .offset:         64
        .size:           8
        .value_kind:     global_buffer
      - .actual_access:  read_only
        .address_space:  global
        .offset:         72
        .size:           8
        .value_kind:     global_buffer
      - .actual_access:  read_only
        .address_space:  global
        .offset:         80
        .size:           8
        .value_kind:     global_buffer
      - .actual_access:  write_only
        .address_space:  global
        .offset:         88
        .size:           8
        .value_kind:     global_buffer
      - .actual_access:  write_only
        .address_space:  global
        .offset:         96
        .size:           8
        .value_kind:     global_buffer
      - .offset:         104
        .size:           4
        .value_kind:     by_value
      - .offset:         108
        .size:           4
        .value_kind:     by_value
      - .offset:         112
        .size:           4
        .value_kind:     by_value
      - .offset:         116
        .size:           1
        .value_kind:     by_value
    .group_segment_fixed_size: 9472
    .kernarg_segment_align: 8
    .kernarg_segment_size: 120
    .language:       OpenCL C
    .language_version:
      - 2
      - 0
    .max_flat_workgroup_size: 256
    .name:           _ZN9rocsparseL39bsrgeam_wf_per_row_multipass_2_3_kernelILj256ELj3ELj64EfEEv20rocsparse_direction_iiiNS_24const_host_device_scalarIT2_EEPKiS6_PKS3_S4_S6_S6_S8_S6_PiPS3_21rocsparse_index_base_SB_SB_b
    .private_segment_fixed_size: 0
    .sgpr_count:     46
    .sgpr_spill_count: 0
    .symbol:         _ZN9rocsparseL39bsrgeam_wf_per_row_multipass_2_3_kernelILj256ELj3ELj64EfEEv20rocsparse_direction_iiiNS_24const_host_device_scalarIT2_EEPKiS6_PKS3_S4_S6_S6_S8_S6_PiPS3_21rocsparse_index_base_SB_SB_b.kd
    .uniform_work_group_size: 1
    .uses_dynamic_stack: false
    .vgpr_count:     64
    .vgpr_spill_count: 0
    .wavefront_size: 64
  - .agpr_count:     0
    .args:
      - .offset:         0
        .size:           4
        .value_kind:     by_value
      - .offset:         4
        .size:           4
        .value_kind:     by_value
      - .offset:         8
        .size:           4
        .value_kind:     by_value
      - .offset:         12
        .size:           4
        .value_kind:     by_value
      - .offset:         16
        .size:           8
        .value_kind:     by_value
      - .actual_access:  read_only
        .address_space:  global
        .offset:         24
        .size:           8
        .value_kind:     global_buffer
      - .actual_access:  read_only
        .address_space:  global
        .offset:         32
        .size:           8
        .value_kind:     global_buffer
      - .actual_access:  read_only
        .address_space:  global
        .offset:         40
        .size:           8
        .value_kind:     global_buffer
      - .offset:         48
        .size:           8
        .value_kind:     by_value
      - .actual_access:  read_only
        .address_space:  global
        .offset:         56
        .size:           8
        .value_kind:     global_buffer
      - .actual_access:  read_only
        .address_space:  global
        .offset:         64
        .size:           8
        .value_kind:     global_buffer
      - .actual_access:  read_only
        .address_space:  global
        .offset:         72
        .size:           8
        .value_kind:     global_buffer
      - .actual_access:  read_only
        .address_space:  global
        .offset:         80
        .size:           8
        .value_kind:     global_buffer
      - .actual_access:  write_only
        .address_space:  global
        .offset:         88
        .size:           8
        .value_kind:     global_buffer
      - .actual_access:  write_only
        .address_space:  global
        .offset:         96
        .size:           8
        .value_kind:     global_buffer
      - .offset:         104
        .size:           4
        .value_kind:     by_value
      - .offset:         108
        .size:           4
        .value_kind:     by_value
      - .offset:         112
        .size:           4
        .value_kind:     by_value
      - .offset:         116
        .size:           1
        .value_kind:     by_value
    .group_segment_fixed_size: 288
    .kernarg_segment_align: 8
    .kernarg_segment_size: 120
    .language:       OpenCL C
    .language_version:
      - 2
      - 0
    .max_flat_workgroup_size: 64
    .name:           _ZN9rocsparseL35bsrgeam_wf_per_row_multipass_kernelILj64ELj4EfEEv20rocsparse_direction_iiiNS_24const_host_device_scalarIT1_EEPKiS6_PKS3_S4_S6_S6_S8_S6_PiPS3_21rocsparse_index_base_SB_SB_b
    .private_segment_fixed_size: 0
    .sgpr_count:     50
    .sgpr_spill_count: 0
    .symbol:         _ZN9rocsparseL35bsrgeam_wf_per_row_multipass_kernelILj64ELj4EfEEv20rocsparse_direction_iiiNS_24const_host_device_scalarIT1_EEPKiS6_PKS3_S4_S6_S6_S8_S6_PiPS3_21rocsparse_index_base_SB_SB_b.kd
    .uniform_work_group_size: 1
    .uses_dynamic_stack: false
    .vgpr_count:     30
    .vgpr_spill_count: 0
    .wavefront_size: 64
  - .agpr_count:     0
    .args:
      - .offset:         0
        .size:           4
        .value_kind:     by_value
      - .offset:         4
        .size:           4
        .value_kind:     by_value
      - .offset:         8
        .size:           4
        .value_kind:     by_value
      - .offset:         12
        .size:           4
        .value_kind:     by_value
      - .offset:         16
        .size:           8
        .value_kind:     by_value
      - .actual_access:  read_only
        .address_space:  global
        .offset:         24
        .size:           8
        .value_kind:     global_buffer
      - .actual_access:  read_only
        .address_space:  global
        .offset:         32
        .size:           8
        .value_kind:     global_buffer
      - .actual_access:  read_only
        .address_space:  global
        .offset:         40
        .size:           8
        .value_kind:     global_buffer
      - .offset:         48
        .size:           8
        .value_kind:     by_value
      - .actual_access:  read_only
        .address_space:  global
        .offset:         56
        .size:           8
        .value_kind:     global_buffer
      - .actual_access:  read_only
        .address_space:  global
        .offset:         64
        .size:           8
        .value_kind:     global_buffer
      - .actual_access:  read_only
        .address_space:  global
        .offset:         72
        .size:           8
        .value_kind:     global_buffer
      - .actual_access:  read_only
        .address_space:  global
        .offset:         80
        .size:           8
        .value_kind:     global_buffer
      - .actual_access:  write_only
        .address_space:  global
        .offset:         88
        .size:           8
        .value_kind:     global_buffer
      - .actual_access:  write_only
        .address_space:  global
        .offset:         96
        .size:           8
        .value_kind:     global_buffer
      - .offset:         104
        .size:           4
        .value_kind:     by_value
      - .offset:         108
        .size:           4
        .value_kind:     by_value
      - .offset:         112
        .size:           4
        .value_kind:     by_value
      - .offset:         116
        .size:           1
        .value_kind:     by_value
    .group_segment_fixed_size: 264
    .kernarg_segment_align: 8
    .kernarg_segment_size: 120
    .language:       OpenCL C
    .language_version:
      - 2
      - 0
    .max_flat_workgroup_size: 64
    .name:           _ZN9rocsparseL35bsrgeam_wf_per_row_multipass_kernelILj64ELj8EfEEv20rocsparse_direction_iiiNS_24const_host_device_scalarIT1_EEPKiS6_PKS3_S4_S6_S6_S8_S6_PiPS3_21rocsparse_index_base_SB_SB_b
    .private_segment_fixed_size: 0
    .sgpr_count:     46
    .sgpr_spill_count: 0
    .symbol:         _ZN9rocsparseL35bsrgeam_wf_per_row_multipass_kernelILj64ELj8EfEEv20rocsparse_direction_iiiNS_24const_host_device_scalarIT1_EEPKiS6_PKS3_S4_S6_S6_S8_S6_PiPS3_21rocsparse_index_base_SB_SB_b.kd
    .uniform_work_group_size: 1
    .uses_dynamic_stack: false
    .vgpr_count:     28
    .vgpr_spill_count: 0
    .wavefront_size: 64
  - .agpr_count:     0
    .args:
      - .offset:         0
        .size:           4
        .value_kind:     by_value
      - .offset:         4
        .size:           4
        .value_kind:     by_value
      - .offset:         8
        .size:           4
        .value_kind:     by_value
      - .offset:         12
        .size:           4
        .value_kind:     by_value
      - .offset:         16
        .size:           8
        .value_kind:     by_value
      - .actual_access:  read_only
        .address_space:  global
        .offset:         24
        .size:           8
        .value_kind:     global_buffer
      - .actual_access:  read_only
        .address_space:  global
        .offset:         32
        .size:           8
        .value_kind:     global_buffer
      - .actual_access:  read_only
        .address_space:  global
        .offset:         40
        .size:           8
        .value_kind:     global_buffer
      - .offset:         48
        .size:           8
        .value_kind:     by_value
      - .actual_access:  read_only
        .address_space:  global
        .offset:         56
        .size:           8
        .value_kind:     global_buffer
      - .actual_access:  read_only
        .address_space:  global
        .offset:         64
        .size:           8
        .value_kind:     global_buffer
      - .actual_access:  read_only
        .address_space:  global
        .offset:         72
        .size:           8
        .value_kind:     global_buffer
      - .actual_access:  read_only
        .address_space:  global
        .offset:         80
        .size:           8
        .value_kind:     global_buffer
      - .actual_access:  write_only
        .address_space:  global
        .offset:         88
        .size:           8
        .value_kind:     global_buffer
      - .actual_access:  write_only
        .address_space:  global
        .offset:         96
        .size:           8
        .value_kind:     global_buffer
      - .offset:         104
        .size:           4
        .value_kind:     by_value
      - .offset:         108
        .size:           4
        .value_kind:     by_value
      - .offset:         112
        .size:           4
        .value_kind:     by_value
      - .offset:         116
        .size:           1
        .value_kind:     by_value
    .group_segment_fixed_size: 1028
    .kernarg_segment_align: 8
    .kernarg_segment_size: 120
    .language:       OpenCL C
    .language_version:
      - 2
      - 0
    .max_flat_workgroup_size: 256
    .name:           _ZN9rocsparseL39bsrgeam_block_per_row_multipass_kernel2ILj256ELj16EfEEv20rocsparse_direction_iiiNS_24const_host_device_scalarIT1_EEPKiS6_PKS3_S4_S6_S6_S8_S6_PiPS3_21rocsparse_index_base_SB_SB_b
    .private_segment_fixed_size: 0
    .sgpr_count:     47
    .sgpr_spill_count: 0
    .symbol:         _ZN9rocsparseL39bsrgeam_block_per_row_multipass_kernel2ILj256ELj16EfEEv20rocsparse_direction_iiiNS_24const_host_device_scalarIT1_EEPKiS6_PKS3_S4_S6_S6_S8_S6_PiPS3_21rocsparse_index_base_SB_SB_b.kd
    .uniform_work_group_size: 1
    .uses_dynamic_stack: false
    .vgpr_count:     14
    .vgpr_spill_count: 0
    .wavefront_size: 64
  - .agpr_count:     0
    .args:
      - .offset:         0
        .size:           4
        .value_kind:     by_value
      - .offset:         4
        .size:           4
        .value_kind:     by_value
      - .offset:         8
        .size:           4
        .value_kind:     by_value
      - .offset:         12
        .size:           4
        .value_kind:     by_value
      - .offset:         16
        .size:           8
        .value_kind:     by_value
      - .actual_access:  read_only
        .address_space:  global
        .offset:         24
        .size:           8
        .value_kind:     global_buffer
      - .actual_access:  read_only
        .address_space:  global
        .offset:         32
        .size:           8
        .value_kind:     global_buffer
      - .actual_access:  read_only
        .address_space:  global
        .offset:         40
        .size:           8
        .value_kind:     global_buffer
      - .offset:         48
        .size:           8
        .value_kind:     by_value
      - .actual_access:  read_only
        .address_space:  global
        .offset:         56
        .size:           8
        .value_kind:     global_buffer
      - .actual_access:  read_only
        .address_space:  global
        .offset:         64
        .size:           8
        .value_kind:     global_buffer
      - .actual_access:  read_only
        .address_space:  global
        .offset:         72
        .size:           8
        .value_kind:     global_buffer
      - .actual_access:  read_only
        .address_space:  global
        .offset:         80
        .size:           8
        .value_kind:     global_buffer
      - .actual_access:  write_only
        .address_space:  global
        .offset:         88
        .size:           8
        .value_kind:     global_buffer
      - .actual_access:  write_only
        .address_space:  global
        .offset:         96
        .size:           8
        .value_kind:     global_buffer
      - .offset:         104
        .size:           4
        .value_kind:     by_value
      - .offset:         108
        .size:           4
        .value_kind:     by_value
      - .offset:         112
        .size:           4
        .value_kind:     by_value
      - .offset:         116
        .size:           1
        .value_kind:     by_value
    .group_segment_fixed_size: 4100
    .kernarg_segment_align: 8
    .kernarg_segment_size: 120
    .language:       OpenCL C
    .language_version:
      - 2
      - 0
    .max_flat_workgroup_size: 256
    .name:           _ZN9rocsparseL39bsrgeam_block_per_row_multipass_kernel2ILj256ELj32EfEEv20rocsparse_direction_iiiNS_24const_host_device_scalarIT1_EEPKiS6_PKS3_S4_S6_S6_S8_S6_PiPS3_21rocsparse_index_base_SB_SB_b
    .private_segment_fixed_size: 0
    .sgpr_count:     55
    .sgpr_spill_count: 0
    .symbol:         _ZN9rocsparseL39bsrgeam_block_per_row_multipass_kernel2ILj256ELj32EfEEv20rocsparse_direction_iiiNS_24const_host_device_scalarIT1_EEPKiS6_PKS3_S4_S6_S6_S8_S6_PiPS3_21rocsparse_index_base_SB_SB_b.kd
    .uniform_work_group_size: 1
    .uses_dynamic_stack: false
    .vgpr_count:     28
    .vgpr_spill_count: 0
    .wavefront_size: 64
  - .agpr_count:     0
    .args:
      - .offset:         0
        .size:           4
        .value_kind:     by_value
      - .offset:         4
        .size:           4
        .value_kind:     by_value
      - .offset:         8
        .size:           4
        .value_kind:     by_value
      - .offset:         12
        .size:           4
        .value_kind:     by_value
      - .offset:         16
        .size:           8
        .value_kind:     by_value
      - .actual_access:  read_only
        .address_space:  global
        .offset:         24
        .size:           8
        .value_kind:     global_buffer
      - .actual_access:  read_only
        .address_space:  global
        .offset:         32
        .size:           8
        .value_kind:     global_buffer
      - .actual_access:  read_only
        .address_space:  global
        .offset:         40
        .size:           8
        .value_kind:     global_buffer
      - .offset:         48
        .size:           8
        .value_kind:     by_value
      - .actual_access:  read_only
        .address_space:  global
        .offset:         56
        .size:           8
        .value_kind:     global_buffer
      - .actual_access:  read_only
        .address_space:  global
        .offset:         64
        .size:           8
        .value_kind:     global_buffer
      - .actual_access:  read_only
        .address_space:  global
        .offset:         72
        .size:           8
        .value_kind:     global_buffer
      - .actual_access:  read_only
        .address_space:  global
        .offset:         80
        .size:           8
        .value_kind:     global_buffer
      - .actual_access:  write_only
        .address_space:  global
        .offset:         88
        .size:           8
        .value_kind:     global_buffer
      - .actual_access:  write_only
        .address_space:  global
        .offset:         96
        .size:           8
        .value_kind:     global_buffer
      - .offset:         104
        .size:           4
        .value_kind:     by_value
      - .offset:         108
        .size:           4
        .value_kind:     by_value
      - .offset:         112
        .size:           4
        .value_kind:     by_value
      - .offset:         116
        .size:           1
        .value_kind:     by_value
    .group_segment_fixed_size: 8448
    .kernarg_segment_align: 8
    .kernarg_segment_size: 120
    .language:       OpenCL C
    .language_version:
      - 2
      - 0
    .max_flat_workgroup_size: 256
    .name:           _ZN9rocsparseL39bsrgeam_wf_per_row_multipass_2_3_kernelILj256ELj2ELj32EdEEv20rocsparse_direction_iiiNS_24const_host_device_scalarIT2_EEPKiS6_PKS3_S4_S6_S6_S8_S6_PiPS3_21rocsparse_index_base_SB_SB_b
    .private_segment_fixed_size: 0
    .sgpr_count:     37
    .sgpr_spill_count: 0
    .symbol:         _ZN9rocsparseL39bsrgeam_wf_per_row_multipass_2_3_kernelILj256ELj2ELj32EdEEv20rocsparse_direction_iiiNS_24const_host_device_scalarIT2_EEPKiS6_PKS3_S4_S6_S6_S8_S6_PiPS3_21rocsparse_index_base_SB_SB_b.kd
    .uniform_work_group_size: 1
    .uses_dynamic_stack: false
    .vgpr_count:     46
    .vgpr_spill_count: 0
    .wavefront_size: 64
  - .agpr_count:     0
    .args:
      - .offset:         0
        .size:           4
        .value_kind:     by_value
      - .offset:         4
        .size:           4
        .value_kind:     by_value
      - .offset:         8
        .size:           4
        .value_kind:     by_value
      - .offset:         12
        .size:           4
        .value_kind:     by_value
      - .offset:         16
        .size:           8
        .value_kind:     by_value
      - .actual_access:  read_only
        .address_space:  global
        .offset:         24
        .size:           8
        .value_kind:     global_buffer
      - .actual_access:  read_only
        .address_space:  global
        .offset:         32
        .size:           8
        .value_kind:     global_buffer
      - .actual_access:  read_only
        .address_space:  global
        .offset:         40
        .size:           8
        .value_kind:     global_buffer
      - .offset:         48
        .size:           8
        .value_kind:     by_value
      - .actual_access:  read_only
        .address_space:  global
        .offset:         56
        .size:           8
        .value_kind:     global_buffer
      - .actual_access:  read_only
        .address_space:  global
        .offset:         64
        .size:           8
        .value_kind:     global_buffer
      - .actual_access:  read_only
        .address_space:  global
        .offset:         72
        .size:           8
        .value_kind:     global_buffer
      - .actual_access:  read_only
        .address_space:  global
        .offset:         80
        .size:           8
        .value_kind:     global_buffer
      - .actual_access:  write_only
        .address_space:  global
        .offset:         88
        .size:           8
        .value_kind:     global_buffer
      - .actual_access:  write_only
        .address_space:  global
        .offset:         96
        .size:           8
        .value_kind:     global_buffer
      - .offset:         104
        .size:           4
        .value_kind:     by_value
      - .offset:         108
        .size:           4
        .value_kind:     by_value
      - .offset:         112
        .size:           4
        .value_kind:     by_value
      - .offset:         116
        .size:           1
        .value_kind:     by_value
    .group_segment_fixed_size: 8448
    .kernarg_segment_align: 8
    .kernarg_segment_size: 120
    .language:       OpenCL C
    .language_version:
      - 2
      - 0
    .max_flat_workgroup_size: 256
    .name:           _ZN9rocsparseL39bsrgeam_wf_per_row_multipass_2_3_kernelILj256ELj2ELj64EdEEv20rocsparse_direction_iiiNS_24const_host_device_scalarIT2_EEPKiS6_PKS3_S4_S6_S6_S8_S6_PiPS3_21rocsparse_index_base_SB_SB_b
    .private_segment_fixed_size: 0
    .sgpr_count:     37
    .sgpr_spill_count: 0
    .symbol:         _ZN9rocsparseL39bsrgeam_wf_per_row_multipass_2_3_kernelILj256ELj2ELj64EdEEv20rocsparse_direction_iiiNS_24const_host_device_scalarIT2_EEPKiS6_PKS3_S4_S6_S6_S8_S6_PiPS3_21rocsparse_index_base_SB_SB_b.kd
    .uniform_work_group_size: 1
    .uses_dynamic_stack: false
    .vgpr_count:     48
    .vgpr_spill_count: 0
    .wavefront_size: 64
  - .agpr_count:     0
    .args:
      - .offset:         0
        .size:           4
        .value_kind:     by_value
      - .offset:         4
        .size:           4
        .value_kind:     by_value
      - .offset:         8
        .size:           4
        .value_kind:     by_value
      - .offset:         12
        .size:           4
        .value_kind:     by_value
      - .offset:         16
        .size:           8
        .value_kind:     by_value
      - .actual_access:  read_only
        .address_space:  global
        .offset:         24
        .size:           8
        .value_kind:     global_buffer
      - .actual_access:  read_only
        .address_space:  global
        .offset:         32
        .size:           8
        .value_kind:     global_buffer
      - .actual_access:  read_only
        .address_space:  global
        .offset:         40
        .size:           8
        .value_kind:     global_buffer
      - .offset:         48
        .size:           8
        .value_kind:     by_value
      - .actual_access:  read_only
        .address_space:  global
        .offset:         56
        .size:           8
        .value_kind:     global_buffer
      - .actual_access:  read_only
        .address_space:  global
        .offset:         64
        .size:           8
        .value_kind:     global_buffer
      - .actual_access:  read_only
        .address_space:  global
        .offset:         72
        .size:           8
        .value_kind:     global_buffer
      - .actual_access:  read_only
        .address_space:  global
        .offset:         80
        .size:           8
        .value_kind:     global_buffer
      - .actual_access:  write_only
        .address_space:  global
        .offset:         88
        .size:           8
        .value_kind:     global_buffer
      - .actual_access:  write_only
        .address_space:  global
        .offset:         96
        .size:           8
        .value_kind:     global_buffer
      - .offset:         104
        .size:           4
        .value_kind:     by_value
      - .offset:         108
        .size:           4
        .value_kind:     by_value
      - .offset:         112
        .size:           4
        .value_kind:     by_value
      - .offset:         116
        .size:           1
        .value_kind:     by_value
    .group_segment_fixed_size: 18688
    .kernarg_segment_align: 8
    .kernarg_segment_size: 120
    .language:       OpenCL C
    .language_version:
      - 2
      - 0
    .max_flat_workgroup_size: 256
    .name:           _ZN9rocsparseL39bsrgeam_wf_per_row_multipass_2_3_kernelILj256ELj3ELj32EdEEv20rocsparse_direction_iiiNS_24const_host_device_scalarIT2_EEPKiS6_PKS3_S4_S6_S6_S8_S6_PiPS3_21rocsparse_index_base_SB_SB_b
    .private_segment_fixed_size: 0
    .sgpr_count:     43
    .sgpr_spill_count: 0
    .symbol:         _ZN9rocsparseL39bsrgeam_wf_per_row_multipass_2_3_kernelILj256ELj3ELj32EdEEv20rocsparse_direction_iiiNS_24const_host_device_scalarIT2_EEPKiS6_PKS3_S4_S6_S6_S8_S6_PiPS3_21rocsparse_index_base_SB_SB_b.kd
    .uniform_work_group_size: 1
    .uses_dynamic_stack: false
    .vgpr_count:     80
    .vgpr_spill_count: 0
    .wavefront_size: 64
  - .agpr_count:     0
    .args:
      - .offset:         0
        .size:           4
        .value_kind:     by_value
      - .offset:         4
        .size:           4
        .value_kind:     by_value
      - .offset:         8
        .size:           4
        .value_kind:     by_value
      - .offset:         12
        .size:           4
        .value_kind:     by_value
      - .offset:         16
        .size:           8
        .value_kind:     by_value
      - .actual_access:  read_only
        .address_space:  global
        .offset:         24
        .size:           8
        .value_kind:     global_buffer
      - .actual_access:  read_only
        .address_space:  global
        .offset:         32
        .size:           8
        .value_kind:     global_buffer
      - .actual_access:  read_only
        .address_space:  global
        .offset:         40
        .size:           8
        .value_kind:     global_buffer
      - .offset:         48
        .size:           8
        .value_kind:     by_value
      - .actual_access:  read_only
        .address_space:  global
        .offset:         56
        .size:           8
        .value_kind:     global_buffer
      - .actual_access:  read_only
        .address_space:  global
        .offset:         64
        .size:           8
        .value_kind:     global_buffer
      - .actual_access:  read_only
        .address_space:  global
        .offset:         72
        .size:           8
        .value_kind:     global_buffer
      - .actual_access:  read_only
        .address_space:  global
        .offset:         80
        .size:           8
        .value_kind:     global_buffer
      - .actual_access:  write_only
        .address_space:  global
        .offset:         88
        .size:           8
        .value_kind:     global_buffer
      - .actual_access:  write_only
        .address_space:  global
        .offset:         96
        .size:           8
        .value_kind:     global_buffer
      - .offset:         104
        .size:           4
        .value_kind:     by_value
      - .offset:         108
        .size:           4
        .value_kind:     by_value
      - .offset:         112
        .size:           4
        .value_kind:     by_value
      - .offset:         116
        .size:           1
        .value_kind:     by_value
    .group_segment_fixed_size: 18688
    .kernarg_segment_align: 8
    .kernarg_segment_size: 120
    .language:       OpenCL C
    .language_version:
      - 2
      - 0
    .max_flat_workgroup_size: 256
    .name:           _ZN9rocsparseL39bsrgeam_wf_per_row_multipass_2_3_kernelILj256ELj3ELj64EdEEv20rocsparse_direction_iiiNS_24const_host_device_scalarIT2_EEPKiS6_PKS3_S4_S6_S6_S8_S6_PiPS3_21rocsparse_index_base_SB_SB_b
    .private_segment_fixed_size: 0
    .sgpr_count:     43
    .sgpr_spill_count: 0
    .symbol:         _ZN9rocsparseL39bsrgeam_wf_per_row_multipass_2_3_kernelILj256ELj3ELj64EdEEv20rocsparse_direction_iiiNS_24const_host_device_scalarIT2_EEPKiS6_PKS3_S4_S6_S6_S8_S6_PiPS3_21rocsparse_index_base_SB_SB_b.kd
    .uniform_work_group_size: 1
    .uses_dynamic_stack: false
    .vgpr_count:     82
    .vgpr_spill_count: 0
    .wavefront_size: 64
  - .agpr_count:     0
    .args:
      - .offset:         0
        .size:           4
        .value_kind:     by_value
      - .offset:         4
        .size:           4
        .value_kind:     by_value
      - .offset:         8
        .size:           4
        .value_kind:     by_value
      - .offset:         12
        .size:           4
        .value_kind:     by_value
      - .offset:         16
        .size:           8
        .value_kind:     by_value
      - .actual_access:  read_only
        .address_space:  global
        .offset:         24
        .size:           8
        .value_kind:     global_buffer
      - .actual_access:  read_only
        .address_space:  global
        .offset:         32
        .size:           8
        .value_kind:     global_buffer
      - .actual_access:  read_only
        .address_space:  global
        .offset:         40
        .size:           8
        .value_kind:     global_buffer
      - .offset:         48
        .size:           8
        .value_kind:     by_value
      - .actual_access:  read_only
        .address_space:  global
        .offset:         56
        .size:           8
        .value_kind:     global_buffer
      - .actual_access:  read_only
        .address_space:  global
        .offset:         64
        .size:           8
        .value_kind:     global_buffer
      - .actual_access:  read_only
        .address_space:  global
        .offset:         72
        .size:           8
        .value_kind:     global_buffer
      - .actual_access:  read_only
        .address_space:  global
        .offset:         80
        .size:           8
        .value_kind:     global_buffer
      - .actual_access:  write_only
        .address_space:  global
        .offset:         88
        .size:           8
        .value_kind:     global_buffer
      - .actual_access:  write_only
        .address_space:  global
        .offset:         96
        .size:           8
        .value_kind:     global_buffer
      - .offset:         104
        .size:           4
        .value_kind:     by_value
      - .offset:         108
        .size:           4
        .value_kind:     by_value
      - .offset:         112
        .size:           4
        .value_kind:     by_value
      - .offset:         116
        .size:           1
        .value_kind:     by_value
    .group_segment_fixed_size: 544
    .kernarg_segment_align: 8
    .kernarg_segment_size: 120
    .language:       OpenCL C
    .language_version:
      - 2
      - 0
    .max_flat_workgroup_size: 64
    .name:           _ZN9rocsparseL35bsrgeam_wf_per_row_multipass_kernelILj64ELj4EdEEv20rocsparse_direction_iiiNS_24const_host_device_scalarIT1_EEPKiS6_PKS3_S4_S6_S6_S8_S6_PiPS3_21rocsparse_index_base_SB_SB_b
    .private_segment_fixed_size: 0
    .sgpr_count:     46
    .sgpr_spill_count: 0
    .symbol:         _ZN9rocsparseL35bsrgeam_wf_per_row_multipass_kernelILj64ELj4EdEEv20rocsparse_direction_iiiNS_24const_host_device_scalarIT1_EEPKiS6_PKS3_S4_S6_S6_S8_S6_PiPS3_21rocsparse_index_base_SB_SB_b.kd
    .uniform_work_group_size: 1
    .uses_dynamic_stack: false
    .vgpr_count:     36
    .vgpr_spill_count: 0
    .wavefront_size: 64
  - .agpr_count:     0
    .args:
      - .offset:         0
        .size:           4
        .value_kind:     by_value
      - .offset:         4
        .size:           4
        .value_kind:     by_value
      - .offset:         8
        .size:           4
        .value_kind:     by_value
      - .offset:         12
        .size:           4
        .value_kind:     by_value
      - .offset:         16
        .size:           8
        .value_kind:     by_value
      - .actual_access:  read_only
        .address_space:  global
        .offset:         24
        .size:           8
        .value_kind:     global_buffer
      - .actual_access:  read_only
        .address_space:  global
        .offset:         32
        .size:           8
        .value_kind:     global_buffer
      - .actual_access:  read_only
        .address_space:  global
        .offset:         40
        .size:           8
        .value_kind:     global_buffer
      - .offset:         48
        .size:           8
        .value_kind:     by_value
      - .actual_access:  read_only
        .address_space:  global
        .offset:         56
        .size:           8
        .value_kind:     global_buffer
      - .actual_access:  read_only
        .address_space:  global
        .offset:         64
        .size:           8
        .value_kind:     global_buffer
      - .actual_access:  read_only
        .address_space:  global
        .offset:         72
        .size:           8
        .value_kind:     global_buffer
      - .actual_access:  read_only
        .address_space:  global
        .offset:         80
        .size:           8
        .value_kind:     global_buffer
      - .actual_access:  write_only
        .address_space:  global
        .offset:         88
        .size:           8
        .value_kind:     global_buffer
      - .actual_access:  write_only
        .address_space:  global
        .offset:         96
        .size:           8
        .value_kind:     global_buffer
      - .offset:         104
        .size:           4
        .value_kind:     by_value
      - .offset:         108
        .size:           4
        .value_kind:     by_value
      - .offset:         112
        .size:           4
        .value_kind:     by_value
      - .offset:         116
        .size:           1
        .value_kind:     by_value
    .group_segment_fixed_size: 520
    .kernarg_segment_align: 8
    .kernarg_segment_size: 120
    .language:       OpenCL C
    .language_version:
      - 2
      - 0
    .max_flat_workgroup_size: 64
    .name:           _ZN9rocsparseL35bsrgeam_wf_per_row_multipass_kernelILj64ELj8EdEEv20rocsparse_direction_iiiNS_24const_host_device_scalarIT1_EEPKiS6_PKS3_S4_S6_S6_S8_S6_PiPS3_21rocsparse_index_base_SB_SB_b
    .private_segment_fixed_size: 0
    .sgpr_count:     42
    .sgpr_spill_count: 0
    .symbol:         _ZN9rocsparseL35bsrgeam_wf_per_row_multipass_kernelILj64ELj8EdEEv20rocsparse_direction_iiiNS_24const_host_device_scalarIT1_EEPKiS6_PKS3_S4_S6_S6_S8_S6_PiPS3_21rocsparse_index_base_SB_SB_b.kd
    .uniform_work_group_size: 1
    .uses_dynamic_stack: false
    .vgpr_count:     36
    .vgpr_spill_count: 0
    .wavefront_size: 64
  - .agpr_count:     0
    .args:
      - .offset:         0
        .size:           4
        .value_kind:     by_value
      - .offset:         4
        .size:           4
        .value_kind:     by_value
      - .offset:         8
        .size:           4
        .value_kind:     by_value
      - .offset:         12
        .size:           4
        .value_kind:     by_value
      - .offset:         16
        .size:           8
        .value_kind:     by_value
      - .actual_access:  read_only
        .address_space:  global
        .offset:         24
        .size:           8
        .value_kind:     global_buffer
      - .actual_access:  read_only
        .address_space:  global
        .offset:         32
        .size:           8
        .value_kind:     global_buffer
      - .actual_access:  read_only
        .address_space:  global
        .offset:         40
        .size:           8
        .value_kind:     global_buffer
      - .offset:         48
        .size:           8
        .value_kind:     by_value
      - .actual_access:  read_only
        .address_space:  global
        .offset:         56
        .size:           8
        .value_kind:     global_buffer
      - .actual_access:  read_only
        .address_space:  global
        .offset:         64
        .size:           8
        .value_kind:     global_buffer
      - .actual_access:  read_only
        .address_space:  global
        .offset:         72
        .size:           8
        .value_kind:     global_buffer
      - .actual_access:  read_only
        .address_space:  global
        .offset:         80
        .size:           8
        .value_kind:     global_buffer
      - .actual_access:  write_only
        .address_space:  global
        .offset:         88
        .size:           8
        .value_kind:     global_buffer
      - .actual_access:  write_only
        .address_space:  global
        .offset:         96
        .size:           8
        .value_kind:     global_buffer
      - .offset:         104
        .size:           4
        .value_kind:     by_value
      - .offset:         108
        .size:           4
        .value_kind:     by_value
      - .offset:         112
        .size:           4
        .value_kind:     by_value
      - .offset:         116
        .size:           1
        .value_kind:     by_value
    .group_segment_fixed_size: 2056
    .kernarg_segment_align: 8
    .kernarg_segment_size: 120
    .language:       OpenCL C
    .language_version:
      - 2
      - 0
    .max_flat_workgroup_size: 256
    .name:           _ZN9rocsparseL39bsrgeam_block_per_row_multipass_kernel2ILj256ELj16EdEEv20rocsparse_direction_iiiNS_24const_host_device_scalarIT1_EEPKiS6_PKS3_S4_S6_S6_S8_S6_PiPS3_21rocsparse_index_base_SB_SB_b
    .private_segment_fixed_size: 0
    .sgpr_count:     46
    .sgpr_spill_count: 0
    .symbol:         _ZN9rocsparseL39bsrgeam_block_per_row_multipass_kernel2ILj256ELj16EdEEv20rocsparse_direction_iiiNS_24const_host_device_scalarIT1_EEPKiS6_PKS3_S4_S6_S6_S8_S6_PiPS3_21rocsparse_index_base_SB_SB_b.kd
    .uniform_work_group_size: 1
    .uses_dynamic_stack: false
    .vgpr_count:     22
    .vgpr_spill_count: 0
    .wavefront_size: 64
  - .agpr_count:     0
    .args:
      - .offset:         0
        .size:           4
        .value_kind:     by_value
      - .offset:         4
        .size:           4
        .value_kind:     by_value
      - .offset:         8
        .size:           4
        .value_kind:     by_value
      - .offset:         12
        .size:           4
        .value_kind:     by_value
      - .offset:         16
        .size:           8
        .value_kind:     by_value
      - .actual_access:  read_only
        .address_space:  global
        .offset:         24
        .size:           8
        .value_kind:     global_buffer
      - .actual_access:  read_only
        .address_space:  global
        .offset:         32
        .size:           8
        .value_kind:     global_buffer
      - .actual_access:  read_only
        .address_space:  global
        .offset:         40
        .size:           8
        .value_kind:     global_buffer
      - .offset:         48
        .size:           8
        .value_kind:     by_value
      - .actual_access:  read_only
        .address_space:  global
        .offset:         56
        .size:           8
        .value_kind:     global_buffer
      - .actual_access:  read_only
        .address_space:  global
        .offset:         64
        .size:           8
        .value_kind:     global_buffer
      - .actual_access:  read_only
        .address_space:  global
        .offset:         72
        .size:           8
        .value_kind:     global_buffer
      - .actual_access:  read_only
        .address_space:  global
        .offset:         80
        .size:           8
        .value_kind:     global_buffer
      - .actual_access:  write_only
        .address_space:  global
        .offset:         88
        .size:           8
        .value_kind:     global_buffer
      - .actual_access:  write_only
        .address_space:  global
        .offset:         96
        .size:           8
        .value_kind:     global_buffer
      - .offset:         104
        .size:           4
        .value_kind:     by_value
      - .offset:         108
        .size:           4
        .value_kind:     by_value
      - .offset:         112
        .size:           4
        .value_kind:     by_value
      - .offset:         116
        .size:           1
        .value_kind:     by_value
    .group_segment_fixed_size: 8200
    .kernarg_segment_align: 8
    .kernarg_segment_size: 120
    .language:       OpenCL C
    .language_version:
      - 2
      - 0
    .max_flat_workgroup_size: 256
    .name:           _ZN9rocsparseL39bsrgeam_block_per_row_multipass_kernel2ILj256ELj32EdEEv20rocsparse_direction_iiiNS_24const_host_device_scalarIT1_EEPKiS6_PKS3_S4_S6_S6_S8_S6_PiPS3_21rocsparse_index_base_SB_SB_b
    .private_segment_fixed_size: 0
    .sgpr_count:     54
    .sgpr_spill_count: 0
    .symbol:         _ZN9rocsparseL39bsrgeam_block_per_row_multipass_kernel2ILj256ELj32EdEEv20rocsparse_direction_iiiNS_24const_host_device_scalarIT1_EEPKiS6_PKS3_S4_S6_S6_S8_S6_PiPS3_21rocsparse_index_base_SB_SB_b.kd
    .uniform_work_group_size: 1
    .uses_dynamic_stack: false
    .vgpr_count:     36
    .vgpr_spill_count: 0
    .wavefront_size: 64
  - .agpr_count:     0
    .args:
      - .offset:         0
        .size:           4
        .value_kind:     by_value
      - .offset:         4
        .size:           4
        .value_kind:     by_value
      - .offset:         8
        .size:           4
        .value_kind:     by_value
      - .offset:         12
        .size:           4
        .value_kind:     by_value
      - .offset:         16
        .size:           8
        .value_kind:     by_value
      - .actual_access:  read_only
        .address_space:  global
        .offset:         24
        .size:           8
        .value_kind:     global_buffer
      - .actual_access:  read_only
        .address_space:  global
        .offset:         32
        .size:           8
        .value_kind:     global_buffer
      - .actual_access:  read_only
        .address_space:  global
        .offset:         40
        .size:           8
        .value_kind:     global_buffer
      - .offset:         48
        .size:           8
        .value_kind:     by_value
      - .actual_access:  read_only
        .address_space:  global
        .offset:         56
        .size:           8
        .value_kind:     global_buffer
      - .actual_access:  read_only
        .address_space:  global
        .offset:         64
        .size:           8
        .value_kind:     global_buffer
      - .actual_access:  read_only
        .address_space:  global
        .offset:         72
        .size:           8
        .value_kind:     global_buffer
      - .actual_access:  read_only
        .address_space:  global
        .offset:         80
        .size:           8
        .value_kind:     global_buffer
      - .actual_access:  write_only
        .address_space:  global
        .offset:         88
        .size:           8
        .value_kind:     global_buffer
      - .actual_access:  write_only
        .address_space:  global
        .offset:         96
        .size:           8
        .value_kind:     global_buffer
      - .offset:         104
        .size:           4
        .value_kind:     by_value
      - .offset:         108
        .size:           4
        .value_kind:     by_value
      - .offset:         112
        .size:           4
        .value_kind:     by_value
      - .offset:         116
        .size:           1
        .value_kind:     by_value
    .group_segment_fixed_size: 8448
    .kernarg_segment_align: 8
    .kernarg_segment_size: 120
    .language:       OpenCL C
    .language_version:
      - 2
      - 0
    .max_flat_workgroup_size: 256
    .name:           _ZN9rocsparseL39bsrgeam_wf_per_row_multipass_2_3_kernelILj256ELj2ELj32E21rocsparse_complex_numIfEEEv20rocsparse_direction_iiiNS_24const_host_device_scalarIT2_EEPKiS8_PKS5_S6_S8_S8_SA_S8_PiPS5_21rocsparse_index_base_SD_SD_b
    .private_segment_fixed_size: 0
    .sgpr_count:     46
    .sgpr_spill_count: 0
    .symbol:         _ZN9rocsparseL39bsrgeam_wf_per_row_multipass_2_3_kernelILj256ELj2ELj32E21rocsparse_complex_numIfEEEv20rocsparse_direction_iiiNS_24const_host_device_scalarIT2_EEPKiS8_PKS5_S6_S8_S8_SA_S8_PiPS5_21rocsparse_index_base_SD_SD_b.kd
    .uniform_work_group_size: 1
    .uses_dynamic_stack: false
    .vgpr_count:     44
    .vgpr_spill_count: 0
    .wavefront_size: 64
  - .agpr_count:     0
    .args:
      - .offset:         0
        .size:           4
        .value_kind:     by_value
      - .offset:         4
        .size:           4
        .value_kind:     by_value
      - .offset:         8
        .size:           4
        .value_kind:     by_value
      - .offset:         12
        .size:           4
        .value_kind:     by_value
      - .offset:         16
        .size:           8
        .value_kind:     by_value
      - .actual_access:  read_only
        .address_space:  global
        .offset:         24
        .size:           8
        .value_kind:     global_buffer
      - .actual_access:  read_only
        .address_space:  global
        .offset:         32
        .size:           8
        .value_kind:     global_buffer
      - .actual_access:  read_only
        .address_space:  global
        .offset:         40
        .size:           8
        .value_kind:     global_buffer
      - .offset:         48
        .size:           8
        .value_kind:     by_value
      - .actual_access:  read_only
        .address_space:  global
        .offset:         56
        .size:           8
        .value_kind:     global_buffer
      - .actual_access:  read_only
        .address_space:  global
        .offset:         64
        .size:           8
        .value_kind:     global_buffer
      - .actual_access:  read_only
        .address_space:  global
        .offset:         72
        .size:           8
        .value_kind:     global_buffer
      - .actual_access:  read_only
        .address_space:  global
        .offset:         80
        .size:           8
        .value_kind:     global_buffer
      - .actual_access:  write_only
        .address_space:  global
        .offset:         88
        .size:           8
        .value_kind:     global_buffer
      - .actual_access:  write_only
        .address_space:  global
        .offset:         96
        .size:           8
        .value_kind:     global_buffer
      - .offset:         104
        .size:           4
        .value_kind:     by_value
      - .offset:         108
        .size:           4
        .value_kind:     by_value
      - .offset:         112
        .size:           4
        .value_kind:     by_value
      - .offset:         116
        .size:           1
        .value_kind:     by_value
    .group_segment_fixed_size: 8448
    .kernarg_segment_align: 8
    .kernarg_segment_size: 120
    .language:       OpenCL C
    .language_version:
      - 2
      - 0
    .max_flat_workgroup_size: 256
    .name:           _ZN9rocsparseL39bsrgeam_wf_per_row_multipass_2_3_kernelILj256ELj2ELj64E21rocsparse_complex_numIfEEEv20rocsparse_direction_iiiNS_24const_host_device_scalarIT2_EEPKiS8_PKS5_S6_S8_S8_SA_S8_PiPS5_21rocsparse_index_base_SD_SD_b
    .private_segment_fixed_size: 0
    .sgpr_count:     46
    .sgpr_spill_count: 0
    .symbol:         _ZN9rocsparseL39bsrgeam_wf_per_row_multipass_2_3_kernelILj256ELj2ELj64E21rocsparse_complex_numIfEEEv20rocsparse_direction_iiiNS_24const_host_device_scalarIT2_EEPKiS8_PKS5_S6_S8_S8_SA_S8_PiPS5_21rocsparse_index_base_SD_SD_b.kd
    .uniform_work_group_size: 1
    .uses_dynamic_stack: false
    .vgpr_count:     46
    .vgpr_spill_count: 0
    .wavefront_size: 64
  - .agpr_count:     0
    .args:
      - .offset:         0
        .size:           4
        .value_kind:     by_value
      - .offset:         4
        .size:           4
        .value_kind:     by_value
      - .offset:         8
        .size:           4
        .value_kind:     by_value
      - .offset:         12
        .size:           4
        .value_kind:     by_value
      - .offset:         16
        .size:           8
        .value_kind:     by_value
      - .actual_access:  read_only
        .address_space:  global
        .offset:         24
        .size:           8
        .value_kind:     global_buffer
      - .actual_access:  read_only
        .address_space:  global
        .offset:         32
        .size:           8
        .value_kind:     global_buffer
      - .actual_access:  read_only
        .address_space:  global
        .offset:         40
        .size:           8
        .value_kind:     global_buffer
      - .offset:         48
        .size:           8
        .value_kind:     by_value
      - .actual_access:  read_only
        .address_space:  global
        .offset:         56
        .size:           8
        .value_kind:     global_buffer
      - .actual_access:  read_only
        .address_space:  global
        .offset:         64
        .size:           8
        .value_kind:     global_buffer
      - .actual_access:  read_only
        .address_space:  global
        .offset:         72
        .size:           8
        .value_kind:     global_buffer
      - .actual_access:  read_only
        .address_space:  global
        .offset:         80
        .size:           8
        .value_kind:     global_buffer
      - .actual_access:  write_only
        .address_space:  global
        .offset:         88
        .size:           8
        .value_kind:     global_buffer
      - .actual_access:  write_only
        .address_space:  global
        .offset:         96
        .size:           8
        .value_kind:     global_buffer
      - .offset:         104
        .size:           4
        .value_kind:     by_value
      - .offset:         108
        .size:           4
        .value_kind:     by_value
      - .offset:         112
        .size:           4
        .value_kind:     by_value
      - .offset:         116
        .size:           1
        .value_kind:     by_value
    .group_segment_fixed_size: 18688
    .kernarg_segment_align: 8
    .kernarg_segment_size: 120
    .language:       OpenCL C
    .language_version:
      - 2
      - 0
    .max_flat_workgroup_size: 256
    .name:           _ZN9rocsparseL39bsrgeam_wf_per_row_multipass_2_3_kernelILj256ELj3ELj32E21rocsparse_complex_numIfEEEv20rocsparse_direction_iiiNS_24const_host_device_scalarIT2_EEPKiS8_PKS5_S6_S8_S8_SA_S8_PiPS5_21rocsparse_index_base_SD_SD_b
    .private_segment_fixed_size: 0
    .sgpr_count:     51
    .sgpr_spill_count: 0
    .symbol:         _ZN9rocsparseL39bsrgeam_wf_per_row_multipass_2_3_kernelILj256ELj3ELj32E21rocsparse_complex_numIfEEEv20rocsparse_direction_iiiNS_24const_host_device_scalarIT2_EEPKiS8_PKS5_S6_S8_S8_SA_S8_PiPS5_21rocsparse_index_base_SD_SD_b.kd
    .uniform_work_group_size: 1
    .uses_dynamic_stack: false
    .vgpr_count:     78
    .vgpr_spill_count: 0
    .wavefront_size: 64
  - .agpr_count:     0
    .args:
      - .offset:         0
        .size:           4
        .value_kind:     by_value
      - .offset:         4
        .size:           4
        .value_kind:     by_value
      - .offset:         8
        .size:           4
        .value_kind:     by_value
      - .offset:         12
        .size:           4
        .value_kind:     by_value
      - .offset:         16
        .size:           8
        .value_kind:     by_value
      - .actual_access:  read_only
        .address_space:  global
        .offset:         24
        .size:           8
        .value_kind:     global_buffer
      - .actual_access:  read_only
        .address_space:  global
        .offset:         32
        .size:           8
        .value_kind:     global_buffer
      - .actual_access:  read_only
        .address_space:  global
        .offset:         40
        .size:           8
        .value_kind:     global_buffer
      - .offset:         48
        .size:           8
        .value_kind:     by_value
      - .actual_access:  read_only
        .address_space:  global
        .offset:         56
        .size:           8
        .value_kind:     global_buffer
      - .actual_access:  read_only
        .address_space:  global
        .offset:         64
        .size:           8
        .value_kind:     global_buffer
      - .actual_access:  read_only
        .address_space:  global
        .offset:         72
        .size:           8
        .value_kind:     global_buffer
      - .actual_access:  read_only
        .address_space:  global
        .offset:         80
        .size:           8
        .value_kind:     global_buffer
      - .actual_access:  write_only
        .address_space:  global
        .offset:         88
        .size:           8
        .value_kind:     global_buffer
      - .actual_access:  write_only
        .address_space:  global
        .offset:         96
        .size:           8
        .value_kind:     global_buffer
      - .offset:         104
        .size:           4
        .value_kind:     by_value
      - .offset:         108
        .size:           4
        .value_kind:     by_value
      - .offset:         112
        .size:           4
        .value_kind:     by_value
      - .offset:         116
        .size:           1
        .value_kind:     by_value
    .group_segment_fixed_size: 18688
    .kernarg_segment_align: 8
    .kernarg_segment_size: 120
    .language:       OpenCL C
    .language_version:
      - 2
      - 0
    .max_flat_workgroup_size: 256
    .name:           _ZN9rocsparseL39bsrgeam_wf_per_row_multipass_2_3_kernelILj256ELj3ELj64E21rocsparse_complex_numIfEEEv20rocsparse_direction_iiiNS_24const_host_device_scalarIT2_EEPKiS8_PKS5_S6_S8_S8_SA_S8_PiPS5_21rocsparse_index_base_SD_SD_b
    .private_segment_fixed_size: 0
    .sgpr_count:     51
    .sgpr_spill_count: 0
    .symbol:         _ZN9rocsparseL39bsrgeam_wf_per_row_multipass_2_3_kernelILj256ELj3ELj64E21rocsparse_complex_numIfEEEv20rocsparse_direction_iiiNS_24const_host_device_scalarIT2_EEPKiS8_PKS5_S6_S8_S8_SA_S8_PiPS5_21rocsparse_index_base_SD_SD_b.kd
    .uniform_work_group_size: 1
    .uses_dynamic_stack: false
    .vgpr_count:     80
    .vgpr_spill_count: 0
    .wavefront_size: 64
  - .agpr_count:     0
    .args:
      - .offset:         0
        .size:           4
        .value_kind:     by_value
      - .offset:         4
        .size:           4
        .value_kind:     by_value
      - .offset:         8
        .size:           4
        .value_kind:     by_value
      - .offset:         12
        .size:           4
        .value_kind:     by_value
      - .offset:         16
        .size:           8
        .value_kind:     by_value
      - .actual_access:  read_only
        .address_space:  global
        .offset:         24
        .size:           8
        .value_kind:     global_buffer
      - .actual_access:  read_only
        .address_space:  global
        .offset:         32
        .size:           8
        .value_kind:     global_buffer
      - .actual_access:  read_only
        .address_space:  global
        .offset:         40
        .size:           8
        .value_kind:     global_buffer
      - .offset:         48
        .size:           8
        .value_kind:     by_value
      - .actual_access:  read_only
        .address_space:  global
        .offset:         56
        .size:           8
        .value_kind:     global_buffer
      - .actual_access:  read_only
        .address_space:  global
        .offset:         64
        .size:           8
        .value_kind:     global_buffer
      - .actual_access:  read_only
        .address_space:  global
        .offset:         72
        .size:           8
        .value_kind:     global_buffer
      - .actual_access:  read_only
        .address_space:  global
        .offset:         80
        .size:           8
        .value_kind:     global_buffer
      - .actual_access:  write_only
        .address_space:  global
        .offset:         88
        .size:           8
        .value_kind:     global_buffer
      - .actual_access:  write_only
        .address_space:  global
        .offset:         96
        .size:           8
        .value_kind:     global_buffer
      - .offset:         104
        .size:           4
        .value_kind:     by_value
      - .offset:         108
        .size:           4
        .value_kind:     by_value
      - .offset:         112
        .size:           4
        .value_kind:     by_value
      - .offset:         116
        .size:           1
        .value_kind:     by_value
    .group_segment_fixed_size: 544
    .kernarg_segment_align: 8
    .kernarg_segment_size: 120
    .language:       OpenCL C
    .language_version:
      - 2
      - 0
    .max_flat_workgroup_size: 64
    .name:           _ZN9rocsparseL35bsrgeam_wf_per_row_multipass_kernelILj64ELj4E21rocsparse_complex_numIfEEEv20rocsparse_direction_iiiNS_24const_host_device_scalarIT1_EEPKiS8_PKS5_S6_S8_S8_SA_S8_PiPS5_21rocsparse_index_base_SD_SD_b
    .private_segment_fixed_size: 0
    .sgpr_count:     52
    .sgpr_spill_count: 0
    .symbol:         _ZN9rocsparseL35bsrgeam_wf_per_row_multipass_kernelILj64ELj4E21rocsparse_complex_numIfEEEv20rocsparse_direction_iiiNS_24const_host_device_scalarIT1_EEPKiS8_PKS5_S6_S8_S8_SA_S8_PiPS5_21rocsparse_index_base_SD_SD_b.kd
    .uniform_work_group_size: 1
    .uses_dynamic_stack: false
    .vgpr_count:     30
    .vgpr_spill_count: 0
    .wavefront_size: 64
  - .agpr_count:     0
    .args:
      - .offset:         0
        .size:           4
        .value_kind:     by_value
      - .offset:         4
        .size:           4
        .value_kind:     by_value
      - .offset:         8
        .size:           4
        .value_kind:     by_value
      - .offset:         12
        .size:           4
        .value_kind:     by_value
      - .offset:         16
        .size:           8
        .value_kind:     by_value
      - .actual_access:  read_only
        .address_space:  global
        .offset:         24
        .size:           8
        .value_kind:     global_buffer
      - .actual_access:  read_only
        .address_space:  global
        .offset:         32
        .size:           8
        .value_kind:     global_buffer
      - .actual_access:  read_only
        .address_space:  global
        .offset:         40
        .size:           8
        .value_kind:     global_buffer
      - .offset:         48
        .size:           8
        .value_kind:     by_value
      - .actual_access:  read_only
        .address_space:  global
        .offset:         56
        .size:           8
        .value_kind:     global_buffer
      - .actual_access:  read_only
        .address_space:  global
        .offset:         64
        .size:           8
        .value_kind:     global_buffer
      - .actual_access:  read_only
        .address_space:  global
        .offset:         72
        .size:           8
        .value_kind:     global_buffer
      - .actual_access:  read_only
        .address_space:  global
        .offset:         80
        .size:           8
        .value_kind:     global_buffer
      - .actual_access:  write_only
        .address_space:  global
        .offset:         88
        .size:           8
        .value_kind:     global_buffer
      - .actual_access:  write_only
        .address_space:  global
        .offset:         96
        .size:           8
        .value_kind:     global_buffer
      - .offset:         104
        .size:           4
        .value_kind:     by_value
      - .offset:         108
        .size:           4
        .value_kind:     by_value
      - .offset:         112
        .size:           4
        .value_kind:     by_value
      - .offset:         116
        .size:           1
        .value_kind:     by_value
    .group_segment_fixed_size: 520
    .kernarg_segment_align: 8
    .kernarg_segment_size: 120
    .language:       OpenCL C
    .language_version:
      - 2
      - 0
    .max_flat_workgroup_size: 64
    .name:           _ZN9rocsparseL35bsrgeam_wf_per_row_multipass_kernelILj64ELj8E21rocsparse_complex_numIfEEEv20rocsparse_direction_iiiNS_24const_host_device_scalarIT1_EEPKiS8_PKS5_S6_S8_S8_SA_S8_PiPS5_21rocsparse_index_base_SD_SD_b
    .private_segment_fixed_size: 0
    .sgpr_count:     48
    .sgpr_spill_count: 0
    .symbol:         _ZN9rocsparseL35bsrgeam_wf_per_row_multipass_kernelILj64ELj8E21rocsparse_complex_numIfEEEv20rocsparse_direction_iiiNS_24const_host_device_scalarIT1_EEPKiS8_PKS5_S6_S8_S8_SA_S8_PiPS5_21rocsparse_index_base_SD_SD_b.kd
    .uniform_work_group_size: 1
    .uses_dynamic_stack: false
    .vgpr_count:     28
    .vgpr_spill_count: 0
    .wavefront_size: 64
  - .agpr_count:     0
    .args:
      - .offset:         0
        .size:           4
        .value_kind:     by_value
      - .offset:         4
        .size:           4
        .value_kind:     by_value
      - .offset:         8
        .size:           4
        .value_kind:     by_value
      - .offset:         12
        .size:           4
        .value_kind:     by_value
      - .offset:         16
        .size:           8
        .value_kind:     by_value
      - .actual_access:  read_only
        .address_space:  global
        .offset:         24
        .size:           8
        .value_kind:     global_buffer
      - .actual_access:  read_only
        .address_space:  global
        .offset:         32
        .size:           8
        .value_kind:     global_buffer
      - .actual_access:  read_only
        .address_space:  global
        .offset:         40
        .size:           8
        .value_kind:     global_buffer
      - .offset:         48
        .size:           8
        .value_kind:     by_value
      - .actual_access:  read_only
        .address_space:  global
        .offset:         56
        .size:           8
        .value_kind:     global_buffer
      - .actual_access:  read_only
        .address_space:  global
        .offset:         64
        .size:           8
        .value_kind:     global_buffer
      - .actual_access:  read_only
        .address_space:  global
        .offset:         72
        .size:           8
        .value_kind:     global_buffer
      - .actual_access:  read_only
        .address_space:  global
        .offset:         80
        .size:           8
        .value_kind:     global_buffer
      - .actual_access:  write_only
        .address_space:  global
        .offset:         88
        .size:           8
        .value_kind:     global_buffer
      - .actual_access:  write_only
        .address_space:  global
        .offset:         96
        .size:           8
        .value_kind:     global_buffer
      - .offset:         104
        .size:           4
        .value_kind:     by_value
      - .offset:         108
        .size:           4
        .value_kind:     by_value
      - .offset:         112
        .size:           4
        .value_kind:     by_value
      - .offset:         116
        .size:           1
        .value_kind:     by_value
    .group_segment_fixed_size: 2052
    .kernarg_segment_align: 8
    .kernarg_segment_size: 120
    .language:       OpenCL C
    .language_version:
      - 2
      - 0
    .max_flat_workgroup_size: 256
    .name:           _ZN9rocsparseL39bsrgeam_block_per_row_multipass_kernel2ILj256ELj16E21rocsparse_complex_numIfEEEv20rocsparse_direction_iiiNS_24const_host_device_scalarIT1_EEPKiS8_PKS5_S6_S8_S8_SA_S8_PiPS5_21rocsparse_index_base_SD_SD_b
    .private_segment_fixed_size: 0
    .sgpr_count:     54
    .sgpr_spill_count: 0
    .symbol:         _ZN9rocsparseL39bsrgeam_block_per_row_multipass_kernel2ILj256ELj16E21rocsparse_complex_numIfEEEv20rocsparse_direction_iiiNS_24const_host_device_scalarIT1_EEPKiS8_PKS5_S6_S8_S8_SA_S8_PiPS5_21rocsparse_index_base_SD_SD_b.kd
    .uniform_work_group_size: 1
    .uses_dynamic_stack: false
    .vgpr_count:     18
    .vgpr_spill_count: 0
    .wavefront_size: 64
  - .agpr_count:     0
    .args:
      - .offset:         0
        .size:           4
        .value_kind:     by_value
      - .offset:         4
        .size:           4
        .value_kind:     by_value
      - .offset:         8
        .size:           4
        .value_kind:     by_value
      - .offset:         12
        .size:           4
        .value_kind:     by_value
      - .offset:         16
        .size:           8
        .value_kind:     by_value
      - .actual_access:  read_only
        .address_space:  global
        .offset:         24
        .size:           8
        .value_kind:     global_buffer
      - .actual_access:  read_only
        .address_space:  global
        .offset:         32
        .size:           8
        .value_kind:     global_buffer
      - .actual_access:  read_only
        .address_space:  global
        .offset:         40
        .size:           8
        .value_kind:     global_buffer
      - .offset:         48
        .size:           8
        .value_kind:     by_value
      - .actual_access:  read_only
        .address_space:  global
        .offset:         56
        .size:           8
        .value_kind:     global_buffer
      - .actual_access:  read_only
        .address_space:  global
        .offset:         64
        .size:           8
        .value_kind:     global_buffer
      - .actual_access:  read_only
        .address_space:  global
        .offset:         72
        .size:           8
        .value_kind:     global_buffer
      - .actual_access:  read_only
        .address_space:  global
        .offset:         80
        .size:           8
        .value_kind:     global_buffer
      - .actual_access:  write_only
        .address_space:  global
        .offset:         88
        .size:           8
        .value_kind:     global_buffer
      - .actual_access:  write_only
        .address_space:  global
        .offset:         96
        .size:           8
        .value_kind:     global_buffer
      - .offset:         104
        .size:           4
        .value_kind:     by_value
      - .offset:         108
        .size:           4
        .value_kind:     by_value
      - .offset:         112
        .size:           4
        .value_kind:     by_value
      - .offset:         116
        .size:           1
        .value_kind:     by_value
    .group_segment_fixed_size: 8196
    .kernarg_segment_align: 8
    .kernarg_segment_size: 120
    .language:       OpenCL C
    .language_version:
      - 2
      - 0
    .max_flat_workgroup_size: 256
    .name:           _ZN9rocsparseL39bsrgeam_block_per_row_multipass_kernel2ILj256ELj32E21rocsparse_complex_numIfEEEv20rocsparse_direction_iiiNS_24const_host_device_scalarIT1_EEPKiS8_PKS5_S6_S8_S8_SA_S8_PiPS5_21rocsparse_index_base_SD_SD_b
    .private_segment_fixed_size: 0
    .sgpr_count:     62
    .sgpr_spill_count: 0
    .symbol:         _ZN9rocsparseL39bsrgeam_block_per_row_multipass_kernel2ILj256ELj32E21rocsparse_complex_numIfEEEv20rocsparse_direction_iiiNS_24const_host_device_scalarIT1_EEPKiS8_PKS5_S6_S8_S8_SA_S8_PiPS5_21rocsparse_index_base_SD_SD_b.kd
    .uniform_work_group_size: 1
    .uses_dynamic_stack: false
    .vgpr_count:     30
    .vgpr_spill_count: 0
    .wavefront_size: 64
  - .agpr_count:     0
    .args:
      - .offset:         0
        .size:           4
        .value_kind:     by_value
      - .offset:         4
        .size:           4
        .value_kind:     by_value
      - .offset:         8
        .size:           4
        .value_kind:     by_value
      - .offset:         12
        .size:           4
        .value_kind:     by_value
      - .offset:         16
        .size:           16
        .value_kind:     by_value
      - .actual_access:  read_only
        .address_space:  global
        .offset:         32
        .size:           8
        .value_kind:     global_buffer
      - .actual_access:  read_only
        .address_space:  global
        .offset:         40
        .size:           8
        .value_kind:     global_buffer
      - .actual_access:  read_only
        .address_space:  global
        .offset:         48
        .size:           8
        .value_kind:     global_buffer
      - .offset:         56
        .size:           16
        .value_kind:     by_value
      - .actual_access:  read_only
        .address_space:  global
        .offset:         72
        .size:           8
        .value_kind:     global_buffer
      - .actual_access:  read_only
        .address_space:  global
        .offset:         80
        .size:           8
        .value_kind:     global_buffer
      - .actual_access:  read_only
        .address_space:  global
        .offset:         88
        .size:           8
        .value_kind:     global_buffer
      - .actual_access:  read_only
        .address_space:  global
        .offset:         96
        .size:           8
        .value_kind:     global_buffer
      - .actual_access:  write_only
        .address_space:  global
        .offset:         104
        .size:           8
        .value_kind:     global_buffer
      - .actual_access:  write_only
        .address_space:  global
        .offset:         112
        .size:           8
        .value_kind:     global_buffer
      - .offset:         120
        .size:           4
        .value_kind:     by_value
      - .offset:         124
        .size:           4
        .value_kind:     by_value
      - .offset:         128
        .size:           4
        .value_kind:     by_value
      - .offset:         132
        .size:           1
        .value_kind:     by_value
    .group_segment_fixed_size: 16640
    .kernarg_segment_align: 8
    .kernarg_segment_size: 136
    .language:       OpenCL C
    .language_version:
      - 2
      - 0
    .max_flat_workgroup_size: 256
    .name:           _ZN9rocsparseL39bsrgeam_wf_per_row_multipass_2_3_kernelILj256ELj2ELj32E21rocsparse_complex_numIdEEEv20rocsparse_direction_iiiNS_24const_host_device_scalarIT2_EEPKiS8_PKS5_S6_S8_S8_SA_S8_PiPS5_21rocsparse_index_base_SD_SD_b
    .private_segment_fixed_size: 16
    .sgpr_count:     36
    .sgpr_spill_count: 0
    .symbol:         _ZN9rocsparseL39bsrgeam_wf_per_row_multipass_2_3_kernelILj256ELj2ELj32E21rocsparse_complex_numIdEEEv20rocsparse_direction_iiiNS_24const_host_device_scalarIT2_EEPKiS8_PKS5_S6_S8_S8_SA_S8_PiPS5_21rocsparse_index_base_SD_SD_b.kd
    .uniform_work_group_size: 1
    .uses_dynamic_stack: false
    .vgpr_count:     68
    .vgpr_spill_count: 0
    .wavefront_size: 64
  - .agpr_count:     0
    .args:
      - .offset:         0
        .size:           4
        .value_kind:     by_value
      - .offset:         4
        .size:           4
        .value_kind:     by_value
      - .offset:         8
        .size:           4
        .value_kind:     by_value
      - .offset:         12
        .size:           4
        .value_kind:     by_value
      - .offset:         16
        .size:           16
        .value_kind:     by_value
      - .actual_access:  read_only
        .address_space:  global
        .offset:         32
        .size:           8
        .value_kind:     global_buffer
      - .actual_access:  read_only
        .address_space:  global
        .offset:         40
        .size:           8
        .value_kind:     global_buffer
      - .actual_access:  read_only
        .address_space:  global
        .offset:         48
        .size:           8
        .value_kind:     global_buffer
      - .offset:         56
        .size:           16
        .value_kind:     by_value
      - .actual_access:  read_only
        .address_space:  global
        .offset:         72
        .size:           8
        .value_kind:     global_buffer
      - .actual_access:  read_only
        .address_space:  global
        .offset:         80
        .size:           8
        .value_kind:     global_buffer
      - .actual_access:  read_only
        .address_space:  global
        .offset:         88
        .size:           8
        .value_kind:     global_buffer
      - .actual_access:  read_only
        .address_space:  global
        .offset:         96
        .size:           8
        .value_kind:     global_buffer
      - .actual_access:  write_only
        .address_space:  global
        .offset:         104
        .size:           8
        .value_kind:     global_buffer
      - .actual_access:  write_only
        .address_space:  global
        .offset:         112
        .size:           8
        .value_kind:     global_buffer
      - .offset:         120
        .size:           4
        .value_kind:     by_value
      - .offset:         124
        .size:           4
        .value_kind:     by_value
      - .offset:         128
        .size:           4
        .value_kind:     by_value
      - .offset:         132
        .size:           1
        .value_kind:     by_value
    .group_segment_fixed_size: 16640
    .kernarg_segment_align: 8
    .kernarg_segment_size: 136
    .language:       OpenCL C
    .language_version:
      - 2
      - 0
    .max_flat_workgroup_size: 256
    .name:           _ZN9rocsparseL39bsrgeam_wf_per_row_multipass_2_3_kernelILj256ELj2ELj64E21rocsparse_complex_numIdEEEv20rocsparse_direction_iiiNS_24const_host_device_scalarIT2_EEPKiS8_PKS5_S6_S8_S8_SA_S8_PiPS5_21rocsparse_index_base_SD_SD_b
    .private_segment_fixed_size: 16
    .sgpr_count:     36
    .sgpr_spill_count: 0
    .symbol:         _ZN9rocsparseL39bsrgeam_wf_per_row_multipass_2_3_kernelILj256ELj2ELj64E21rocsparse_complex_numIdEEEv20rocsparse_direction_iiiNS_24const_host_device_scalarIT2_EEPKiS8_PKS5_S6_S8_S8_SA_S8_PiPS5_21rocsparse_index_base_SD_SD_b.kd
    .uniform_work_group_size: 1
    .uses_dynamic_stack: false
    .vgpr_count:     70
    .vgpr_spill_count: 0
    .wavefront_size: 64
  - .agpr_count:     0
    .args:
      - .offset:         0
        .size:           4
        .value_kind:     by_value
      - .offset:         4
        .size:           4
        .value_kind:     by_value
      - .offset:         8
        .size:           4
        .value_kind:     by_value
      - .offset:         12
        .size:           4
        .value_kind:     by_value
      - .offset:         16
        .size:           16
        .value_kind:     by_value
      - .actual_access:  read_only
        .address_space:  global
        .offset:         32
        .size:           8
        .value_kind:     global_buffer
      - .actual_access:  read_only
        .address_space:  global
        .offset:         40
        .size:           8
        .value_kind:     global_buffer
      - .actual_access:  read_only
        .address_space:  global
        .offset:         48
        .size:           8
        .value_kind:     global_buffer
      - .offset:         56
        .size:           16
        .value_kind:     by_value
      - .actual_access:  read_only
        .address_space:  global
        .offset:         72
        .size:           8
        .value_kind:     global_buffer
      - .actual_access:  read_only
        .address_space:  global
        .offset:         80
        .size:           8
        .value_kind:     global_buffer
      - .actual_access:  read_only
        .address_space:  global
        .offset:         88
        .size:           8
        .value_kind:     global_buffer
      - .actual_access:  read_only
        .address_space:  global
        .offset:         96
        .size:           8
        .value_kind:     global_buffer
      - .actual_access:  write_only
        .address_space:  global
        .offset:         104
        .size:           8
        .value_kind:     global_buffer
      - .actual_access:  write_only
        .address_space:  global
        .offset:         112
        .size:           8
        .value_kind:     global_buffer
      - .offset:         120
        .size:           4
        .value_kind:     by_value
      - .offset:         124
        .size:           4
        .value_kind:     by_value
      - .offset:         128
        .size:           4
        .value_kind:     by_value
      - .offset:         132
        .size:           1
        .value_kind:     by_value
    .group_segment_fixed_size: 37120
    .kernarg_segment_align: 8
    .kernarg_segment_size: 136
    .language:       OpenCL C
    .language_version:
      - 2
      - 0
    .max_flat_workgroup_size: 256
    .name:           _ZN9rocsparseL39bsrgeam_wf_per_row_multipass_2_3_kernelILj256ELj3ELj32E21rocsparse_complex_numIdEEEv20rocsparse_direction_iiiNS_24const_host_device_scalarIT2_EEPKiS8_PKS5_S6_S8_S8_SA_S8_PiPS5_21rocsparse_index_base_SD_SD_b
    .private_segment_fixed_size: 16
    .sgpr_count:     36
    .sgpr_spill_count: 0
    .symbol:         _ZN9rocsparseL39bsrgeam_wf_per_row_multipass_2_3_kernelILj256ELj3ELj32E21rocsparse_complex_numIdEEEv20rocsparse_direction_iiiNS_24const_host_device_scalarIT2_EEPKiS8_PKS5_S6_S8_S8_SA_S8_PiPS5_21rocsparse_index_base_SD_SD_b.kd
    .uniform_work_group_size: 1
    .uses_dynamic_stack: false
    .vgpr_count:     126
    .vgpr_spill_count: 0
    .wavefront_size: 64
  - .agpr_count:     0
    .args:
      - .offset:         0
        .size:           4
        .value_kind:     by_value
      - .offset:         4
        .size:           4
        .value_kind:     by_value
      - .offset:         8
        .size:           4
        .value_kind:     by_value
      - .offset:         12
        .size:           4
        .value_kind:     by_value
      - .offset:         16
        .size:           16
        .value_kind:     by_value
      - .actual_access:  read_only
        .address_space:  global
        .offset:         32
        .size:           8
        .value_kind:     global_buffer
      - .actual_access:  read_only
        .address_space:  global
        .offset:         40
        .size:           8
        .value_kind:     global_buffer
      - .actual_access:  read_only
        .address_space:  global
        .offset:         48
        .size:           8
        .value_kind:     global_buffer
      - .offset:         56
        .size:           16
        .value_kind:     by_value
      - .actual_access:  read_only
        .address_space:  global
        .offset:         72
        .size:           8
        .value_kind:     global_buffer
      - .actual_access:  read_only
        .address_space:  global
        .offset:         80
        .size:           8
        .value_kind:     global_buffer
      - .actual_access:  read_only
        .address_space:  global
        .offset:         88
        .size:           8
        .value_kind:     global_buffer
      - .actual_access:  read_only
        .address_space:  global
        .offset:         96
        .size:           8
        .value_kind:     global_buffer
      - .actual_access:  write_only
        .address_space:  global
        .offset:         104
        .size:           8
        .value_kind:     global_buffer
      - .actual_access:  write_only
        .address_space:  global
        .offset:         112
        .size:           8
        .value_kind:     global_buffer
      - .offset:         120
        .size:           4
        .value_kind:     by_value
      - .offset:         124
        .size:           4
        .value_kind:     by_value
      - .offset:         128
        .size:           4
        .value_kind:     by_value
      - .offset:         132
        .size:           1
        .value_kind:     by_value
    .group_segment_fixed_size: 37120
    .kernarg_segment_align: 8
    .kernarg_segment_size: 136
    .language:       OpenCL C
    .language_version:
      - 2
      - 0
    .max_flat_workgroup_size: 256
    .name:           _ZN9rocsparseL39bsrgeam_wf_per_row_multipass_2_3_kernelILj256ELj3ELj64E21rocsparse_complex_numIdEEEv20rocsparse_direction_iiiNS_24const_host_device_scalarIT2_EEPKiS8_PKS5_S6_S8_S8_SA_S8_PiPS5_21rocsparse_index_base_SD_SD_b
    .private_segment_fixed_size: 16
    .sgpr_count:     36
    .sgpr_spill_count: 0
    .symbol:         _ZN9rocsparseL39bsrgeam_wf_per_row_multipass_2_3_kernelILj256ELj3ELj64E21rocsparse_complex_numIdEEEv20rocsparse_direction_iiiNS_24const_host_device_scalarIT2_EEPKiS8_PKS5_S6_S8_S8_SA_S8_PiPS5_21rocsparse_index_base_SD_SD_b.kd
    .uniform_work_group_size: 1
    .uses_dynamic_stack: false
    .vgpr_count:     128
    .vgpr_spill_count: 0
    .wavefront_size: 64
  - .agpr_count:     0
    .args:
      - .offset:         0
        .size:           4
        .value_kind:     by_value
      - .offset:         4
        .size:           4
        .value_kind:     by_value
      - .offset:         8
        .size:           4
        .value_kind:     by_value
      - .offset:         12
        .size:           4
        .value_kind:     by_value
      - .offset:         16
        .size:           16
        .value_kind:     by_value
      - .actual_access:  read_only
        .address_space:  global
        .offset:         32
        .size:           8
        .value_kind:     global_buffer
      - .actual_access:  read_only
        .address_space:  global
        .offset:         40
        .size:           8
        .value_kind:     global_buffer
      - .actual_access:  read_only
        .address_space:  global
        .offset:         48
        .size:           8
        .value_kind:     global_buffer
      - .offset:         56
        .size:           16
        .value_kind:     by_value
      - .actual_access:  read_only
        .address_space:  global
        .offset:         72
        .size:           8
        .value_kind:     global_buffer
      - .actual_access:  read_only
        .address_space:  global
        .offset:         80
        .size:           8
        .value_kind:     global_buffer
      - .actual_access:  read_only
        .address_space:  global
        .offset:         88
        .size:           8
        .value_kind:     global_buffer
      - .actual_access:  read_only
        .address_space:  global
        .offset:         96
        .size:           8
        .value_kind:     global_buffer
      - .actual_access:  write_only
        .address_space:  global
        .offset:         104
        .size:           8
        .value_kind:     global_buffer
      - .actual_access:  write_only
        .address_space:  global
        .offset:         112
        .size:           8
        .value_kind:     global_buffer
      - .offset:         120
        .size:           4
        .value_kind:     by_value
      - .offset:         124
        .size:           4
        .value_kind:     by_value
      - .offset:         128
        .size:           4
        .value_kind:     by_value
      - .offset:         132
        .size:           1
        .value_kind:     by_value
    .group_segment_fixed_size: 1056
    .kernarg_segment_align: 8
    .kernarg_segment_size: 136
    .language:       OpenCL C
    .language_version:
      - 2
      - 0
    .max_flat_workgroup_size: 64
    .name:           _ZN9rocsparseL35bsrgeam_wf_per_row_multipass_kernelILj64ELj4E21rocsparse_complex_numIdEEEv20rocsparse_direction_iiiNS_24const_host_device_scalarIT1_EEPKiS8_PKS5_S6_S8_S8_SA_S8_PiPS5_21rocsparse_index_base_SD_SD_b
    .private_segment_fixed_size: 16
    .sgpr_count:     46
    .sgpr_spill_count: 0
    .symbol:         _ZN9rocsparseL35bsrgeam_wf_per_row_multipass_kernelILj64ELj4E21rocsparse_complex_numIdEEEv20rocsparse_direction_iiiNS_24const_host_device_scalarIT1_EEPKiS8_PKS5_S6_S8_S8_SA_S8_PiPS5_21rocsparse_index_base_SD_SD_b.kd
    .uniform_work_group_size: 1
    .uses_dynamic_stack: false
    .vgpr_count:     46
    .vgpr_spill_count: 0
    .wavefront_size: 64
  - .agpr_count:     0
    .args:
      - .offset:         0
        .size:           4
        .value_kind:     by_value
      - .offset:         4
        .size:           4
        .value_kind:     by_value
      - .offset:         8
        .size:           4
        .value_kind:     by_value
      - .offset:         12
        .size:           4
        .value_kind:     by_value
      - .offset:         16
        .size:           16
        .value_kind:     by_value
      - .actual_access:  read_only
        .address_space:  global
        .offset:         32
        .size:           8
        .value_kind:     global_buffer
      - .actual_access:  read_only
        .address_space:  global
        .offset:         40
        .size:           8
        .value_kind:     global_buffer
      - .actual_access:  read_only
        .address_space:  global
        .offset:         48
        .size:           8
        .value_kind:     global_buffer
      - .offset:         56
        .size:           16
        .value_kind:     by_value
      - .actual_access:  read_only
        .address_space:  global
        .offset:         72
        .size:           8
        .value_kind:     global_buffer
      - .actual_access:  read_only
        .address_space:  global
        .offset:         80
        .size:           8
        .value_kind:     global_buffer
      - .actual_access:  read_only
        .address_space:  global
        .offset:         88
        .size:           8
        .value_kind:     global_buffer
      - .actual_access:  read_only
        .address_space:  global
        .offset:         96
        .size:           8
        .value_kind:     global_buffer
      - .actual_access:  write_only
        .address_space:  global
        .offset:         104
        .size:           8
        .value_kind:     global_buffer
      - .actual_access:  write_only
        .address_space:  global
        .offset:         112
        .size:           8
        .value_kind:     global_buffer
      - .offset:         120
        .size:           4
        .value_kind:     by_value
      - .offset:         124
        .size:           4
        .value_kind:     by_value
      - .offset:         128
        .size:           4
        .value_kind:     by_value
      - .offset:         132
        .size:           1
        .value_kind:     by_value
    .group_segment_fixed_size: 1032
    .kernarg_segment_align: 8
    .kernarg_segment_size: 136
    .language:       OpenCL C
    .language_version:
      - 2
      - 0
    .max_flat_workgroup_size: 64
    .name:           _ZN9rocsparseL35bsrgeam_wf_per_row_multipass_kernelILj64ELj8E21rocsparse_complex_numIdEEEv20rocsparse_direction_iiiNS_24const_host_device_scalarIT1_EEPKiS8_PKS5_S6_S8_S8_SA_S8_PiPS5_21rocsparse_index_base_SD_SD_b
    .private_segment_fixed_size: 16
    .sgpr_count:     42
    .sgpr_spill_count: 0
    .symbol:         _ZN9rocsparseL35bsrgeam_wf_per_row_multipass_kernelILj64ELj8E21rocsparse_complex_numIdEEEv20rocsparse_direction_iiiNS_24const_host_device_scalarIT1_EEPKiS8_PKS5_S6_S8_S8_SA_S8_PiPS5_21rocsparse_index_base_SD_SD_b.kd
    .uniform_work_group_size: 1
    .uses_dynamic_stack: false
    .vgpr_count:     46
    .vgpr_spill_count: 0
    .wavefront_size: 64
  - .agpr_count:     0
    .args:
      - .offset:         0
        .size:           4
        .value_kind:     by_value
      - .offset:         4
        .size:           4
        .value_kind:     by_value
      - .offset:         8
        .size:           4
        .value_kind:     by_value
      - .offset:         12
        .size:           4
        .value_kind:     by_value
      - .offset:         16
        .size:           16
        .value_kind:     by_value
      - .actual_access:  read_only
        .address_space:  global
        .offset:         32
        .size:           8
        .value_kind:     global_buffer
      - .actual_access:  read_only
        .address_space:  global
        .offset:         40
        .size:           8
        .value_kind:     global_buffer
      - .actual_access:  read_only
        .address_space:  global
        .offset:         48
        .size:           8
        .value_kind:     global_buffer
      - .offset:         56
        .size:           16
        .value_kind:     by_value
      - .actual_access:  read_only
        .address_space:  global
        .offset:         72
        .size:           8
        .value_kind:     global_buffer
      - .actual_access:  read_only
        .address_space:  global
        .offset:         80
        .size:           8
        .value_kind:     global_buffer
      - .actual_access:  read_only
        .address_space:  global
        .offset:         88
        .size:           8
        .value_kind:     global_buffer
      - .actual_access:  read_only
        .address_space:  global
        .offset:         96
        .size:           8
        .value_kind:     global_buffer
      - .actual_access:  write_only
        .address_space:  global
        .offset:         104
        .size:           8
        .value_kind:     global_buffer
      - .actual_access:  write_only
        .address_space:  global
        .offset:         112
        .size:           8
        .value_kind:     global_buffer
      - .offset:         120
        .size:           4
        .value_kind:     by_value
      - .offset:         124
        .size:           4
        .value_kind:     by_value
      - .offset:         128
        .size:           4
        .value_kind:     by_value
      - .offset:         132
        .size:           1
        .value_kind:     by_value
    .group_segment_fixed_size: 4104
    .kernarg_segment_align: 8
    .kernarg_segment_size: 136
    .language:       OpenCL C
    .language_version:
      - 2
      - 0
    .max_flat_workgroup_size: 256
    .name:           _ZN9rocsparseL39bsrgeam_block_per_row_multipass_kernel2ILj256ELj16E21rocsparse_complex_numIdEEEv20rocsparse_direction_iiiNS_24const_host_device_scalarIT1_EEPKiS8_PKS5_S6_S8_S8_SA_S8_PiPS5_21rocsparse_index_base_SD_SD_b
    .private_segment_fixed_size: 16
    .sgpr_count:     46
    .sgpr_spill_count: 0
    .symbol:         _ZN9rocsparseL39bsrgeam_block_per_row_multipass_kernel2ILj256ELj16E21rocsparse_complex_numIdEEEv20rocsparse_direction_iiiNS_24const_host_device_scalarIT1_EEPKiS8_PKS5_S6_S8_S8_SA_S8_PiPS5_21rocsparse_index_base_SD_SD_b.kd
    .uniform_work_group_size: 1
    .uses_dynamic_stack: false
    .vgpr_count:     32
    .vgpr_spill_count: 0
    .wavefront_size: 64
  - .agpr_count:     0
    .args:
      - .offset:         0
        .size:           4
        .value_kind:     by_value
      - .offset:         4
        .size:           4
        .value_kind:     by_value
      - .offset:         8
        .size:           4
        .value_kind:     by_value
      - .offset:         12
        .size:           4
        .value_kind:     by_value
      - .offset:         16
        .size:           16
        .value_kind:     by_value
      - .actual_access:  read_only
        .address_space:  global
        .offset:         32
        .size:           8
        .value_kind:     global_buffer
      - .actual_access:  read_only
        .address_space:  global
        .offset:         40
        .size:           8
        .value_kind:     global_buffer
      - .actual_access:  read_only
        .address_space:  global
        .offset:         48
        .size:           8
        .value_kind:     global_buffer
      - .offset:         56
        .size:           16
        .value_kind:     by_value
      - .actual_access:  read_only
        .address_space:  global
        .offset:         72
        .size:           8
        .value_kind:     global_buffer
      - .actual_access:  read_only
        .address_space:  global
        .offset:         80
        .size:           8
        .value_kind:     global_buffer
      - .actual_access:  read_only
        .address_space:  global
        .offset:         88
        .size:           8
        .value_kind:     global_buffer
      - .actual_access:  read_only
        .address_space:  global
        .offset:         96
        .size:           8
        .value_kind:     global_buffer
      - .actual_access:  write_only
        .address_space:  global
        .offset:         104
        .size:           8
        .value_kind:     global_buffer
      - .actual_access:  write_only
        .address_space:  global
        .offset:         112
        .size:           8
        .value_kind:     global_buffer
      - .offset:         120
        .size:           4
        .value_kind:     by_value
      - .offset:         124
        .size:           4
        .value_kind:     by_value
      - .offset:         128
        .size:           4
        .value_kind:     by_value
      - .offset:         132
        .size:           1
        .value_kind:     by_value
    .group_segment_fixed_size: 16392
    .kernarg_segment_align: 8
    .kernarg_segment_size: 136
    .language:       OpenCL C
    .language_version:
      - 2
      - 0
    .max_flat_workgroup_size: 256
    .name:           _ZN9rocsparseL39bsrgeam_block_per_row_multipass_kernel2ILj256ELj32E21rocsparse_complex_numIdEEEv20rocsparse_direction_iiiNS_24const_host_device_scalarIT1_EEPKiS8_PKS5_S6_S8_S8_SA_S8_PiPS5_21rocsparse_index_base_SD_SD_b
    .private_segment_fixed_size: 16
    .sgpr_count:     54
    .sgpr_spill_count: 0
    .symbol:         _ZN9rocsparseL39bsrgeam_block_per_row_multipass_kernel2ILj256ELj32E21rocsparse_complex_numIdEEEv20rocsparse_direction_iiiNS_24const_host_device_scalarIT1_EEPKiS8_PKS5_S6_S8_S8_SA_S8_PiPS5_21rocsparse_index_base_SD_SD_b.kd
    .uniform_work_group_size: 1
    .uses_dynamic_stack: false
    .vgpr_count:     46
    .vgpr_spill_count: 0
    .wavefront_size: 64
amdhsa.target:   amdgcn-amd-amdhsa--gfx950
amdhsa.version:
  - 1
  - 2
...

	.end_amdgpu_metadata
